;; amdgpu-corpus repo=ROCm/rocFFT kind=compiled arch=gfx950 opt=O3
	.text
	.amdgcn_target "amdgcn-amd-amdhsa--gfx950"
	.amdhsa_code_object_version 6
	.protected	fft_rtc_fwd_len1190_factors_17_2_5_7_wgs_255_tpt_85_halfLds_dp_op_CI_CI_unitstride_sbrr_R2C_dirReg ; -- Begin function fft_rtc_fwd_len1190_factors_17_2_5_7_wgs_255_tpt_85_halfLds_dp_op_CI_CI_unitstride_sbrr_R2C_dirReg
	.globl	fft_rtc_fwd_len1190_factors_17_2_5_7_wgs_255_tpt_85_halfLds_dp_op_CI_CI_unitstride_sbrr_R2C_dirReg
	.p2align	8
	.type	fft_rtc_fwd_len1190_factors_17_2_5_7_wgs_255_tpt_85_halfLds_dp_op_CI_CI_unitstride_sbrr_R2C_dirReg,@function
fft_rtc_fwd_len1190_factors_17_2_5_7_wgs_255_tpt_85_halfLds_dp_op_CI_CI_unitstride_sbrr_R2C_dirReg: ; @fft_rtc_fwd_len1190_factors_17_2_5_7_wgs_255_tpt_85_halfLds_dp_op_CI_CI_unitstride_sbrr_R2C_dirReg
; %bb.0:
	s_load_dwordx4 s[4:7], s[0:1], 0x58
	s_load_dwordx4 s[8:11], s[0:1], 0x0
	;; [unrolled: 1-line block ×3, first 2 shown]
	v_mul_u32_u24_e32 v1, 0x304, v0
	v_lshrrev_b32_e32 v2, 16, v1
	v_mad_u64_u32 v[4:5], s[2:3], s2, 3, v[2:3]
	v_mov_b32_e32 v6, 0
	v_mov_b32_e32 v5, v6
	s_waitcnt lgkmcnt(0)
	v_cmp_lt_u64_e64 s[2:3], s[10:11], 2
	v_mov_b64_e32 v[2:3], 0
	s_and_b64 vcc, exec, s[2:3]
	v_mov_b64_e32 v[120:121], v[2:3]
	v_mov_b64_e32 v[122:123], v[4:5]
	s_cbranch_vccnz .LBB0_8
; %bb.1:
	s_load_dwordx2 s[2:3], s[0:1], 0x10
	s_add_u32 s16, s14, 8
	s_addc_u32 s17, s15, 0
	s_add_u32 s18, s12, 8
	s_addc_u32 s19, s13, 0
	s_waitcnt lgkmcnt(0)
	s_add_u32 s20, s2, 8
	v_mov_b64_e32 v[2:3], 0
	s_addc_u32 s21, s3, 0
	s_mov_b64 s[22:23], 1
	v_mov_b64_e32 v[120:121], v[2:3]
	v_mov_b64_e32 v[8:9], v[4:5]
.LBB0_2:                                ; =>This Inner Loop Header: Depth=1
	s_load_dwordx2 s[24:25], s[20:21], 0x0
                                        ; implicit-def: $vgpr122_vgpr123
	s_waitcnt lgkmcnt(0)
	v_or_b32_e32 v7, s25, v9
	v_cmp_ne_u64_e32 vcc, 0, v[6:7]
	s_and_saveexec_b64 s[2:3], vcc
	s_xor_b64 s[26:27], exec, s[2:3]
	s_cbranch_execz .LBB0_4
; %bb.3:                                ;   in Loop: Header=BB0_2 Depth=1
	v_cvt_f32_u32_e32 v1, s24
	v_cvt_f32_u32_e32 v5, s25
	s_sub_u32 s2, 0, s24
	s_subb_u32 s3, 0, s25
	v_fmac_f32_e32 v1, 0x4f800000, v5
	v_rcp_f32_e32 v1, v1
	s_nop 0
	v_mul_f32_e32 v1, 0x5f7ffffc, v1
	v_mul_f32_e32 v5, 0x2f800000, v1
	v_trunc_f32_e32 v5, v5
	v_fmac_f32_e32 v1, 0xcf800000, v5
	v_cvt_u32_f32_e32 v5, v5
	v_cvt_u32_f32_e32 v1, v1
	v_mul_lo_u32 v7, s2, v5
	v_mul_hi_u32 v10, s2, v1
	v_mul_lo_u32 v11, s3, v1
	v_add_u32_e32 v7, v10, v7
	v_mul_lo_u32 v14, s2, v1
	v_add_u32_e32 v7, v7, v11
	v_mul_hi_u32 v10, v1, v14
	v_mul_hi_u32 v13, v1, v7
	v_mul_lo_u32 v12, v1, v7
	v_mov_b32_e32 v11, v6
	v_lshl_add_u64 v[10:11], v[10:11], 0, v[12:13]
	v_mul_hi_u32 v13, v5, v14
	v_mul_lo_u32 v14, v5, v14
	v_add_co_u32_e32 v10, vcc, v10, v14
	v_mul_hi_u32 v12, v5, v7
	s_nop 0
	v_addc_co_u32_e32 v10, vcc, v11, v13, vcc
	v_mov_b32_e32 v11, v6
	s_nop 0
	v_addc_co_u32_e32 v13, vcc, 0, v12, vcc
	v_mul_lo_u32 v12, v5, v7
	v_lshl_add_u64 v[10:11], v[10:11], 0, v[12:13]
	v_add_co_u32_e32 v1, vcc, v1, v10
	v_mul_hi_u32 v10, s2, v1
	s_nop 0
	v_addc_co_u32_e32 v5, vcc, v5, v11, vcc
	v_mul_lo_u32 v7, s2, v5
	v_add_u32_e32 v7, v10, v7
	v_mul_lo_u32 v10, s3, v1
	v_add_u32_e32 v7, v7, v10
	v_mul_lo_u32 v12, s2, v1
	v_mul_hi_u32 v15, v5, v12
	v_mul_lo_u32 v16, v5, v12
	v_mul_hi_u32 v11, v1, v7
	;; [unrolled: 2-line block ×3, first 2 shown]
	v_mov_b32_e32 v13, v6
	v_lshl_add_u64 v[10:11], v[12:13], 0, v[10:11]
	v_add_co_u32_e32 v10, vcc, v10, v16
	v_mul_hi_u32 v14, v5, v7
	s_nop 0
	v_addc_co_u32_e32 v10, vcc, v11, v15, vcc
	v_mul_lo_u32 v12, v5, v7
	s_nop 0
	v_addc_co_u32_e32 v13, vcc, 0, v14, vcc
	v_mov_b32_e32 v11, v6
	v_lshl_add_u64 v[10:11], v[10:11], 0, v[12:13]
	v_add_co_u32_e32 v1, vcc, v1, v10
	v_mul_hi_u32 v12, v8, v1
	s_nop 0
	v_addc_co_u32_e32 v5, vcc, v5, v11, vcc
	v_mad_u64_u32 v[10:11], s[2:3], v8, v5, 0
	v_mov_b32_e32 v13, v6
	v_lshl_add_u64 v[10:11], v[12:13], 0, v[10:11]
	v_mad_u64_u32 v[14:15], s[2:3], v9, v1, 0
	v_add_co_u32_e32 v1, vcc, v10, v14
	v_mad_u64_u32 v[12:13], s[2:3], v9, v5, 0
	s_nop 0
	v_addc_co_u32_e32 v10, vcc, v11, v15, vcc
	v_mov_b32_e32 v11, v6
	s_nop 0
	v_addc_co_u32_e32 v13, vcc, 0, v13, vcc
	v_lshl_add_u64 v[10:11], v[10:11], 0, v[12:13]
	v_mul_lo_u32 v1, s25, v10
	v_mul_lo_u32 v5, s24, v11
	v_mad_u64_u32 v[12:13], s[2:3], s24, v10, 0
	v_add3_u32 v1, v13, v5, v1
	v_sub_u32_e32 v5, v9, v1
	v_mov_b32_e32 v7, s25
	v_sub_co_u32_e32 v16, vcc, v8, v12
	v_lshl_add_u64 v[14:15], v[10:11], 0, 1
	s_nop 0
	v_subb_co_u32_e64 v5, s[2:3], v5, v7, vcc
	v_subrev_co_u32_e64 v7, s[2:3], s24, v16
	v_subb_co_u32_e32 v1, vcc, v9, v1, vcc
	s_nop 0
	v_subbrev_co_u32_e64 v5, s[2:3], 0, v5, s[2:3]
	v_cmp_le_u32_e64 s[2:3], s25, v5
	v_cmp_le_u32_e32 vcc, s25, v1
	s_nop 0
	v_cndmask_b32_e64 v12, 0, -1, s[2:3]
	v_cmp_le_u32_e64 s[2:3], s24, v7
	s_nop 1
	v_cndmask_b32_e64 v7, 0, -1, s[2:3]
	v_cmp_eq_u32_e64 s[2:3], s25, v5
	s_nop 1
	v_cndmask_b32_e64 v5, v12, v7, s[2:3]
	v_lshl_add_u64 v[12:13], v[10:11], 0, 2
	v_cmp_ne_u32_e64 s[2:3], 0, v5
	v_cndmask_b32_e64 v7, 0, -1, vcc
	v_cmp_le_u32_e32 vcc, s24, v16
	v_cndmask_b32_e64 v5, v15, v13, s[2:3]
	s_nop 0
	v_cndmask_b32_e64 v13, 0, -1, vcc
	v_cmp_eq_u32_e32 vcc, s25, v1
	s_nop 1
	v_cndmask_b32_e32 v1, v7, v13, vcc
	v_cmp_ne_u32_e32 vcc, 0, v1
	v_cndmask_b32_e64 v1, v14, v12, s[2:3]
	s_nop 0
	v_cndmask_b32_e32 v123, v11, v5, vcc
	v_cndmask_b32_e32 v122, v10, v1, vcc
.LBB0_4:                                ;   in Loop: Header=BB0_2 Depth=1
	s_andn2_saveexec_b64 s[2:3], s[26:27]
	s_cbranch_execz .LBB0_6
; %bb.5:                                ;   in Loop: Header=BB0_2 Depth=1
	v_cvt_f32_u32_e32 v1, s24
	s_sub_i32 s26, 0, s24
	v_mov_b32_e32 v123, v6
	v_rcp_iflag_f32_e32 v1, v1
	s_nop 0
	v_mul_f32_e32 v1, 0x4f7ffffe, v1
	v_cvt_u32_f32_e32 v1, v1
	v_mul_lo_u32 v5, s26, v1
	v_mul_hi_u32 v5, v1, v5
	v_add_u32_e32 v1, v1, v5
	v_mul_hi_u32 v1, v8, v1
	v_mul_lo_u32 v5, v1, s24
	v_sub_u32_e32 v5, v8, v5
	v_add_u32_e32 v7, 1, v1
	v_subrev_u32_e32 v10, s24, v5
	v_cmp_le_u32_e32 vcc, s24, v5
	s_nop 1
	v_cndmask_b32_e32 v5, v5, v10, vcc
	v_cndmask_b32_e32 v1, v1, v7, vcc
	v_add_u32_e32 v7, 1, v1
	v_cmp_le_u32_e32 vcc, s24, v5
	s_nop 1
	v_cndmask_b32_e32 v122, v1, v7, vcc
.LBB0_6:                                ;   in Loop: Header=BB0_2 Depth=1
	s_or_b64 exec, exec, s[2:3]
	v_mad_u64_u32 v[10:11], s[2:3], v122, s24, 0
	s_load_dwordx2 s[2:3], s[18:19], 0x0
	s_add_u32 s22, s22, 1
	v_mul_lo_u32 v1, v123, s24
	v_mul_lo_u32 v5, v122, s25
	s_load_dwordx2 s[24:25], s[16:17], 0x0
	s_addc_u32 s23, s23, 0
	v_add3_u32 v1, v11, v5, v1
	v_sub_co_u32_e32 v5, vcc, v8, v10
	s_add_u32 s16, s16, 8
	s_nop 0
	v_subb_co_u32_e32 v1, vcc, v9, v1, vcc
	s_addc_u32 s17, s17, 0
	s_waitcnt lgkmcnt(0)
	v_mul_lo_u32 v7, s2, v1
	v_mul_lo_u32 v8, s3, v5
	v_mad_u64_u32 v[2:3], s[2:3], s2, v5, v[2:3]
	s_add_u32 s18, s18, 8
	v_add3_u32 v3, v8, v3, v7
	s_addc_u32 s19, s19, 0
	v_mov_b64_e32 v[8:9], s[10:11]
	v_mul_lo_u32 v1, s24, v1
	v_mul_lo_u32 v7, s25, v5
	v_mad_u64_u32 v[120:121], s[2:3], s24, v5, v[120:121]
	s_add_u32 s20, s20, 8
	v_cmp_ge_u64_e32 vcc, s[22:23], v[8:9]
	v_add3_u32 v121, v7, v121, v1
	s_addc_u32 s21, s21, 0
	s_cbranch_vccnz .LBB0_8
; %bb.7:                                ;   in Loop: Header=BB0_2 Depth=1
	v_mov_b64_e32 v[8:9], v[122:123]
	s_branch .LBB0_2
.LBB0_8:
	s_load_dwordx2 s[18:19], s[0:1], 0x28
	s_mov_b32 s0, 0xaaaaaaab
	v_mul_hi_u32 v1, v4, s0
	s_lshl_b64 s[16:17], s[10:11], 3
	v_lshrrev_b32_e32 v1, 1, v1
	s_add_u32 s2, s14, s16
	v_lshl_add_u32 v1, v1, 1, v1
	s_addc_u32 s3, s15, s17
	v_sub_u32_e32 v1, v4, v1
	s_waitcnt lgkmcnt(0)
	v_cmp_gt_u64_e64 s[0:1], s[18:19], v[122:123]
	v_cmp_le_u64_e32 vcc, s[18:19], v[122:123]
                                        ; implicit-def: $vgpr124
	s_and_saveexec_b64 s[10:11], vcc
	s_xor_b64 s[10:11], exec, s[10:11]
; %bb.9:
	s_mov_b32 s14, 0x3030304
	v_mul_hi_u32 v2, v0, s14
	v_mul_u32_u24_e32 v2, 0x55, v2
	v_sub_u32_e32 v124, v0, v2
                                        ; implicit-def: $vgpr0
                                        ; implicit-def: $vgpr2_vgpr3
; %bb.10:
	s_or_saveexec_b64 s[10:11], s[10:11]
	v_mul_u32_u24_e32 v219, 0x4a7, v1
	v_lshlrev_b32_e32 v221, 4, v219
	s_xor_b64 exec, exec, s[10:11]
	s_cbranch_execz .LBB0_12
; %bb.11:
	s_add_u32 s12, s12, s16
	s_addc_u32 s13, s13, s17
	s_load_dwordx2 s[12:13], s[12:13], 0x0
	s_mov_b32 s14, 0x3030304
	v_mov_b32_e32 v57, 0
	s_waitcnt lgkmcnt(0)
	v_mul_lo_u32 v1, s13, v122
	v_mul_lo_u32 v6, s12, v123
	v_mad_u64_u32 v[4:5], s[12:13], s12, v122, 0
	v_add3_u32 v5, v5, v6, v1
	v_mul_hi_u32 v1, v0, s14
	v_mul_u32_u24_e32 v1, 0x55, v1
	v_sub_u32_e32 v124, v0, v1
	v_lshl_add_u64 v[0:1], v[4:5], 4, s[4:5]
	v_lshl_add_u64 v[0:1], v[2:3], 4, v[0:1]
	v_lshlrev_b32_e32 v56, 4, v124
	v_lshl_add_u64 v[48:49], v[0:1], 0, v[56:57]
	s_movk_i32 s4, 0x1000
	v_add_co_u32_e32 v40, vcc, s4, v48
	s_movk_i32 s5, 0x2000
	s_nop 0
	v_addc_co_u32_e32 v41, vcc, 0, v49, vcc
	v_add_co_u32_e32 v42, vcc, s5, v48
	global_load_dwordx4 v[0:3], v[48:49], off
	global_load_dwordx4 v[4:7], v[48:49], off offset:1360
	global_load_dwordx4 v[8:11], v[48:49], off offset:2720
	;; [unrolled: 1-line block ×3, first 2 shown]
	v_addc_co_u32_e32 v43, vcc, 0, v49, vcc
	v_add_co_u32_e32 v58, vcc, 0x3000, v48
	global_load_dwordx4 v[16:19], v[40:41], off offset:1344
	global_load_dwordx4 v[20:23], v[40:41], off offset:2704
	v_addc_co_u32_e32 v59, vcc, 0, v49, vcc
	v_add_co_u32_e32 v60, vcc, 0x4000, v48
	global_load_dwordx4 v[24:27], v[40:41], off offset:4064
	global_load_dwordx4 v[28:31], v[42:43], off offset:1328
	global_load_dwordx4 v[32:35], v[42:43], off offset:2688
	global_load_dwordx4 v[36:39], v[42:43], off offset:4048
	s_nop 0
	global_load_dwordx4 v[40:43], v[58:59], off offset:1312
	global_load_dwordx4 v[44:47], v[58:59], off offset:2672
	v_addc_co_u32_e32 v61, vcc, 0, v49, vcc
	global_load_dwordx4 v[48:51], v[58:59], off offset:4032
	global_load_dwordx4 v[52:55], v[60:61], off offset:1296
	v_add3_u32 v56, 0, v221, v56
	s_waitcnt vmcnt(13)
	ds_write_b128 v56, v[0:3]
	s_waitcnt vmcnt(12)
	ds_write_b128 v56, v[4:7] offset:1360
	s_waitcnt vmcnt(11)
	ds_write_b128 v56, v[8:11] offset:2720
	;; [unrolled: 2-line block ×13, first 2 shown]
.LBB0_12:
	s_or_b64 exec, exec, s[10:11]
	v_lshlrev_b32_e32 v125, 4, v124
	v_add_u32_e32 v220, 0, v125
	v_add_u32_e32 v216, 0, v221
	;; [unrolled: 1-line block ×3, first 2 shown]
	s_waitcnt lgkmcnt(0)
	s_barrier
	ds_read_b128 v[4:7], v218 offset:17920
	ds_read_b128 v[8:11], v218 offset:1120
	v_add_u32_e32 v217, v216, v125
	ds_read_b128 v[12:15], v217
	ds_read_b128 v[16:19], v218 offset:2240
	ds_read_b128 v[20:23], v218 offset:3360
	;; [unrolled: 1-line block ×4, first 2 shown]
	s_mov_b32 s10, 0x7c9e640b
	s_waitcnt lgkmcnt(5)
	v_add_f64 v[130:131], v[10:11], -v[6:7]
	s_mov_b32 s4, 0x2b2883cd
	s_mov_b32 s11, 0xbfeca52d
	;; [unrolled: 1-line block ×3, first 2 shown]
	v_add_f64 v[126:127], v[8:9], v[4:5]
	v_add_f64 v[128:129], v[8:9], -v[4:5]
	s_mov_b32 s5, 0x3fdc86fa
	v_mul_f64 v[112:113], v[130:131], s[10:11]
	s_waitcnt lgkmcnt(1)
	v_add_f64 v[140:141], v[18:19], -v[26:27]
	s_mov_b32 s12, 0x6ed5f1bb
	s_mov_b32 s17, 0xbfe9895b
	v_add_f64 v[138:139], v[10:11], v[6:7]
	v_mul_f64 v[114:115], v[128:129], s[10:11]
	v_fma_f64 v[0:1], s[4:5], v[126:127], v[112:113]
	v_add_f64 v[132:133], v[16:17], v[24:25]
	v_add_f64 v[136:137], v[16:17], -v[24:25]
	s_mov_b32 s13, 0xbfe348c8
	v_mul_f64 v[116:117], v[140:141], s[16:17]
	s_mov_b32 s24, 0xacd6c6b4
	v_add_f64 v[0:1], v[12:13], v[0:1]
	v_fma_f64 v[2:3], v[138:139], s[4:5], -v[114:115]
	v_add_f64 v[148:149], v[18:19], v[26:27]
	v_fma_f64 v[32:33], s[12:13], v[132:133], v[116:117]
	v_mul_f64 v[118:119], v[136:137], s[16:17]
	s_mov_b32 s14, 0x7faef3
	s_mov_b32 s25, 0x3fc7851a
	s_waitcnt lgkmcnt(0)
	v_add_f64 v[144:145], v[22:23], -v[30:31]
	v_add_f64 v[2:3], v[14:15], v[2:3]
	v_add_f64 v[0:1], v[32:33], v[0:1]
	v_fma_f64 v[32:33], v[148:149], s[12:13], -v[118:119]
	s_mov_b32 s15, 0xbfef7484
	v_add_f64 v[134:135], v[20:21], v[28:29]
	v_mul_f64 v[180:181], v[144:145], s[24:25]
	v_add_f64 v[142:143], v[20:21], -v[28:29]
	v_add_f64 v[2:3], v[32:33], v[2:3]
	v_fma_f64 v[32:33], s[14:15], v[134:135], v[180:181]
	v_add_f64 v[154:155], v[22:23], v[30:31]
	v_mul_f64 v[188:189], v[142:143], s[24:25]
	v_add_f64 v[0:1], v[32:33], v[0:1]
	v_fma_f64 v[32:33], v[154:155], s[14:15], -v[188:189]
	v_add_f64 v[2:3], v[32:33], v[2:3]
	ds_read_b128 v[32:35], v218 offset:14560
	ds_read_b128 v[36:39], v218 offset:4480
	;; [unrolled: 1-line block ×4, first 2 shown]
	s_mov_b32 s28, 0x923c349f
	s_mov_b32 s18, 0xc61f0d01
	;; [unrolled: 1-line block ×3, first 2 shown]
	s_waitcnt lgkmcnt(2)
	v_add_f64 v[156:157], v[38:39], -v[34:35]
	s_mov_b32 s19, 0xbfd183b1
	v_add_f64 v[146:147], v[36:37], v[32:33]
	v_mul_f64 v[192:193], v[156:157], s[28:29]
	v_add_f64 v[152:153], v[36:37], -v[32:33]
	s_mov_b32 s36, 0x2a9d6da3
	v_fma_f64 v[48:49], s[18:19], v[146:147], v[192:193]
	v_add_f64 v[164:165], v[38:39], v[34:35]
	v_mul_f64 v[198:199], v[152:153], s[28:29]
	s_mov_b32 s22, 0x75d4884
	s_mov_b32 s37, 0x3fe58eea
	s_waitcnt lgkmcnt(0)
	v_add_f64 v[160:161], v[42:43], -v[46:47]
	v_add_f64 v[0:1], v[48:49], v[0:1]
	v_fma_f64 v[48:49], v[164:165], s[18:19], -v[198:199]
	s_mov_b32 s23, 0x3fe7a5f6
	v_add_f64 v[150:151], v[40:41], v[44:45]
	v_mul_f64 v[196:197], v[160:161], s[36:37]
	v_add_f64 v[158:159], v[40:41], -v[44:45]
	v_add_f64 v[2:3], v[48:49], v[2:3]
	v_fma_f64 v[48:49], s[22:23], v[150:151], v[196:197]
	v_add_f64 v[170:171], v[42:43], v[46:47]
	v_mul_f64 v[200:201], v[158:159], s[36:37]
	v_add_f64 v[0:1], v[48:49], v[0:1]
	v_fma_f64 v[48:49], v[170:171], s[22:23], -v[200:201]
	v_add_f64 v[2:3], v[48:49], v[2:3]
	ds_read_b128 v[48:51], v218 offset:12320
	ds_read_b128 v[52:55], v218 offset:6720
	ds_read_b128 v[56:59], v218 offset:7840
	ds_read_b128 v[60:63], v218 offset:11200
	s_mov_b32 s30, 0x5d8e7cdc
	s_mov_b32 s26, 0x370991
	;; [unrolled: 1-line block ×3, first 2 shown]
	s_waitcnt lgkmcnt(2)
	v_add_f64 v[174:175], v[54:55], -v[50:51]
	s_mov_b32 s27, 0x3fedd6d0
	v_add_f64 v[162:163], v[52:53], v[48:49]
	v_mul_f64 v[202:203], v[174:175], s[30:31]
	v_add_f64 v[168:169], v[52:53], -v[48:49]
	s_mov_b32 s38, 0xeb564b22
	v_fma_f64 v[64:65], s[26:27], v[162:163], v[202:203]
	v_add_f64 v[182:183], v[54:55], v[50:51]
	v_mul_f64 v[206:207], v[168:169], s[30:31]
	s_mov_b32 s34, 0x3259b75e
	s_mov_b32 s39, 0xbfefdd0d
	s_waitcnt lgkmcnt(0)
	v_add_f64 v[178:179], v[58:59], -v[62:63]
	v_add_f64 v[0:1], v[64:65], v[0:1]
	v_fma_f64 v[64:65], v[182:183], s[26:27], -v[206:207]
	s_mov_b32 s35, 0x3fb79ee6
	v_add_f64 v[166:167], v[56:57], v[60:61]
	v_mul_f64 v[204:205], v[178:179], s[38:39]
	v_add_f64 v[176:177], v[56:57], -v[60:61]
	v_add_f64 v[2:3], v[64:65], v[2:3]
	v_fma_f64 v[64:65], s[34:35], v[166:167], v[204:205]
	v_add_f64 v[190:191], v[58:59], v[62:63]
	v_mul_f64 v[208:209], v[176:177], s[38:39]
	v_add_f64 v[0:1], v[64:65], v[0:1]
	v_fma_f64 v[64:65], v[190:191], s[34:35], -v[208:209]
	v_add_f64 v[2:3], v[64:65], v[2:3]
	ds_read_b128 v[64:67], v218 offset:8960
	ds_read_b128 v[68:71], v218 offset:10080
	s_mov_b32 s42, 0x4363dd80
	s_mov_b32 s40, 0x910ea3b9
	;; [unrolled: 1-line block ×4, first 2 shown]
	s_waitcnt lgkmcnt(0)
	v_add_f64 v[186:187], v[66:67], -v[70:71]
	v_add_f64 v[172:173], v[64:65], v[68:69]
	v_mul_f64 v[210:211], v[186:187], s[42:43]
	v_add_f64 v[184:185], v[64:65], -v[68:69]
	v_fma_f64 v[72:73], s[40:41], v[172:173], v[210:211]
	v_add_f64 v[194:195], v[66:67], v[70:71]
	v_mul_f64 v[214:215], v[184:185], s[42:43]
	v_add_f64 v[0:1], v[72:73], v[0:1]
	v_fma_f64 v[72:73], v[194:195], s[40:41], -v[214:215]
	s_movk_i32 s20, 0x46
	v_add_f64 v[2:3], v[72:73], v[2:3]
	v_cmp_gt_u32_e32 vcc, s20, v124
	s_barrier
	s_and_saveexec_b64 s[20:21], vcc
	s_cbranch_execz .LBB0_14
; %bb.13:
	v_mul_f64 v[100:101], v[138:139], s[14:15]
	s_mov_b32 s51, 0xbfc7851a
	s_mov_b32 s50, s24
	v_mul_f64 v[96:97], v[148:149], s[26:27]
	v_fma_f64 v[102:103], s[24:25], v[128:129], v[100:101]
	s_mov_b32 s59, 0x3fd71e95
	s_mov_b32 s58, s30
	v_mul_f64 v[228:229], v[130:131], s[50:51]
	v_mul_f64 v[92:93], v[154:155], s[40:41]
	s_mov_b32 s53, 0x3fe0d888
	s_mov_b32 s52, s42
	v_fma_f64 v[98:99], s[30:31], v[136:137], v[96:97]
	v_add_f64 v[102:103], v[14:15], v[102:103]
	v_mul_f64 v[224:225], v[140:141], s[58:59]
	v_fma_f64 v[230:231], s[14:15], v[126:127], v[228:229]
	v_mul_f64 v[88:89], v[164:165], s[22:23]
	s_mov_b32 s45, 0xbfe58eea
	s_mov_b32 s44, s36
	v_fma_f64 v[94:95], s[52:53], v[142:143], v[92:93]
	v_add_f64 v[98:99], v[98:99], v[102:103]
	v_mul_f64 v[110:111], v[144:145], s[42:43]
	v_fma_f64 v[226:227], s[26:27], v[132:133], v[224:225]
	v_add_f64 v[230:231], v[12:13], v[230:231]
	v_mul_f64 v[84:85], v[170:171], s[12:13]
	s_mov_b32 s49, 0x3fe9895b
	s_mov_b32 s48, s16
	v_fma_f64 v[90:91], s[44:45], v[152:153], v[88:89]
	v_add_f64 v[94:95], v[94:95], v[98:99]
	v_mul_f64 v[106:107], v[156:157], s[36:37]
	v_fma_f64 v[222:223], s[40:41], v[134:135], v[110:111]
	v_add_f64 v[226:227], v[226:227], v[230:231]
	v_mul_f64 v[80:81], v[182:183], s[4:5]
	v_fma_f64 v[86:87], s[48:49], v[158:159], v[84:85]
	v_add_f64 v[90:91], v[90:91], v[94:95]
	s_mov_b32 s57, 0x3feca52d
	s_mov_b32 s56, s10
	v_mul_f64 v[102:103], v[160:161], s[16:17]
	v_fma_f64 v[108:109], s[22:23], v[146:147], v[106:107]
	v_add_f64 v[222:223], v[222:223], v[226:227]
	v_mul_f64 v[78:79], v[190:191], s[18:19]
	v_fma_f64 v[82:83], s[10:11], v[168:169], v[80:81]
	v_add_f64 v[86:87], v[86:87], v[90:91]
	s_mov_b32 s47, 0xbfeec746
	s_mov_b32 s46, s28
	;; [unrolled: 8-line block ×3, first 2 shown]
	v_mul_f64 v[86:87], v[178:179], s[46:47]
	v_fma_f64 v[98:99], s[4:5], v[162:163], v[94:95]
	v_add_f64 v[104:105], v[104:105], v[108:109]
	v_fma_f64 v[72:73], s[38:39], v[184:185], v[76:77]
	v_add_f64 v[74:75], v[74:75], v[82:83]
	v_mul_f64 v[82:83], v[186:187], s[54:55]
	v_fma_f64 v[90:91], s[18:19], v[166:167], v[86:87]
	v_add_f64 v[98:99], v[98:99], v[104:105]
	v_add_f64 v[74:75], v[72:73], v[74:75]
	v_fma_f64 v[72:73], s[34:35], v[172:173], v[82:83]
	v_add_f64 v[90:91], v[90:91], v[98:99]
	v_fmac_f64_e32 v[100:101], s[50:51], v[128:129]
	v_add_f64 v[72:73], v[72:73], v[90:91]
	v_fmac_f64_e32 v[96:97], s[58:59], v[136:137]
	;; [unrolled: 2-line block ×6, first 2 shown]
	v_add_f64 v[84:85], v[84:85], v[88:89]
	v_fma_f64 v[92:93], v[126:127], s[14:15], -v[228:229]
	v_mul_f64 v[108:109], v[138:139], s[40:41]
	v_fmac_f64_e32 v[78:79], s[46:47], v[176:177]
	v_add_f64 v[80:81], v[80:81], v[84:85]
	v_fma_f64 v[88:89], v[134:135], s[40:41], -v[110:111]
	v_fma_f64 v[90:91], v[132:133], s[26:27], -v[224:225]
	v_add_f64 v[92:93], v[12:13], v[92:93]
	v_mul_f64 v[104:105], v[148:149], s[4:5]
	v_fma_f64 v[110:111], s[52:53], v[128:129], v[108:109]
	v_mul_f64 v[236:237], v[130:131], s[42:43]
	v_add_f64 v[78:79], v[78:79], v[80:81]
	v_fma_f64 v[80:81], v[166:167], s[18:19], -v[86:87]
	v_fma_f64 v[86:87], v[146:147], s[22:23], -v[106:107]
	v_add_f64 v[90:91], v[90:91], v[92:93]
	v_mul_f64 v[100:101], v[154:155], s[34:35]
	v_fma_f64 v[106:107], s[10:11], v[136:137], v[104:105]
	v_add_f64 v[110:111], v[14:15], v[110:111]
	v_mul_f64 v[232:233], v[140:141], s[56:57]
	v_fma_f64 v[238:239], s[40:41], v[126:127], v[236:237]
	v_fma_f64 v[84:85], v[150:151], s[12:13], -v[102:103]
	v_add_f64 v[88:89], v[88:89], v[90:91]
	v_mul_f64 v[96:97], v[164:165], s[12:13]
	v_fma_f64 v[102:103], s[54:55], v[142:143], v[100:101]
	v_add_f64 v[106:107], v[106:107], v[110:111]
	v_mul_f64 v[228:229], v[144:145], s[38:39]
	v_fma_f64 v[234:235], s[4:5], v[132:133], v[232:233]
	v_add_f64 v[238:239], v[12:13], v[238:239]
	v_fmac_f64_e32 v[76:77], s[54:55], v[184:185]
	v_add_f64 v[86:87], v[86:87], v[88:89]
	v_mul_f64 v[92:93], v[170:171], s[26:27]
	v_fma_f64 v[98:99], s[16:17], v[152:153], v[96:97]
	v_add_f64 v[102:103], v[102:103], v[106:107]
	v_mul_f64 v[224:225], v[156:157], s[48:49]
	v_fma_f64 v[230:231], s[34:35], v[134:135], v[228:229]
	v_add_f64 v[234:235], v[234:235], v[238:239]
	v_add_f64 v[78:79], v[76:77], v[78:79]
	v_fma_f64 v[76:77], v[172:173], s[34:35], -v[82:83]
	v_fma_f64 v[82:83], v[162:163], s[4:5], -v[94:95]
	v_add_f64 v[84:85], v[84:85], v[86:87]
	v_mul_f64 v[88:89], v[182:183], s[14:15]
	v_fma_f64 v[94:95], s[58:59], v[158:159], v[92:93]
	v_add_f64 v[98:99], v[98:99], v[102:103]
	v_mul_f64 v[110:111], v[160:161], s[30:31]
	v_fma_f64 v[226:227], s[12:13], v[146:147], v[224:225]
	v_add_f64 v[230:231], v[230:231], v[234:235]
	v_add_f64 v[82:83], v[82:83], v[84:85]
	v_mul_f64 v[86:87], v[190:191], s[22:23]
	v_fma_f64 v[90:91], s[24:25], v[168:169], v[88:89]
	v_add_f64 v[94:95], v[94:95], v[98:99]
	v_mul_f64 v[102:103], v[174:175], s[50:51]
	v_fma_f64 v[222:223], s[26:27], v[150:151], v[110:111]
	v_add_f64 v[226:227], v[226:227], v[230:231]
	;; [unrolled: 7-line block ×3, first 2 shown]
	v_add_f64 v[76:77], v[76:77], v[80:81]
	v_fma_f64 v[80:81], s[28:29], v[184:185], v[84:85]
	v_add_f64 v[82:83], v[82:83], v[90:91]
	v_mul_f64 v[90:91], v[186:187], s[46:47]
	v_fma_f64 v[98:99], s[22:23], v[166:167], v[94:95]
	v_add_f64 v[106:107], v[106:107], v[222:223]
	v_add_f64 v[82:83], v[80:81], v[82:83]
	v_fma_f64 v[80:81], s[18:19], v[172:173], v[90:91]
	v_add_f64 v[98:99], v[98:99], v[106:107]
	v_fmac_f64_e32 v[108:109], s[42:43], v[128:129]
	v_add_f64 v[80:81], v[80:81], v[98:99]
	v_fmac_f64_e32 v[104:105], s[56:57], v[136:137]
	;; [unrolled: 2-line block ×6, first 2 shown]
	v_add_f64 v[92:93], v[92:93], v[96:97]
	v_fma_f64 v[100:101], v[126:127], s[40:41], -v[236:237]
	v_mul_f64 v[226:227], v[138:139], s[12:13]
	v_fmac_f64_e32 v[86:87], s[36:37], v[176:177]
	v_add_f64 v[88:89], v[88:89], v[92:93]
	v_fma_f64 v[96:97], v[134:135], s[34:35], -v[228:229]
	v_fma_f64 v[98:99], v[132:133], s[4:5], -v[232:233]
	v_add_f64 v[100:101], v[12:13], v[100:101]
	v_mul_f64 v[222:223], v[148:149], s[18:19]
	v_fma_f64 v[228:229], s[48:49], v[128:129], v[226:227]
	v_mul_f64 v[244:245], v[130:131], s[16:17]
	v_add_f64 v[86:87], v[86:87], v[88:89]
	v_fma_f64 v[88:89], v[166:167], s[22:23], -v[94:95]
	v_fma_f64 v[94:95], v[146:147], s[12:13], -v[224:225]
	v_add_f64 v[98:99], v[98:99], v[100:101]
	v_mul_f64 v[108:109], v[154:155], s[26:27]
	v_fma_f64 v[224:225], s[46:47], v[136:137], v[222:223]
	v_add_f64 v[228:229], v[14:15], v[228:229]
	v_mul_f64 v[240:241], v[140:141], s[28:29]
	v_fma_f64 v[246:247], s[12:13], v[126:127], v[244:245]
	v_fma_f64 v[92:93], v[150:151], s[26:27], -v[110:111]
	v_add_f64 v[96:97], v[96:97], v[98:99]
	v_mul_f64 v[104:105], v[164:165], s[40:41]
	v_fma_f64 v[110:111], s[58:59], v[142:143], v[108:109]
	v_add_f64 v[224:225], v[224:225], v[228:229]
	v_mul_f64 v[236:237], v[144:145], s[30:31]
	v_fma_f64 v[242:243], s[18:19], v[132:133], v[240:241]
	v_add_f64 v[246:247], v[12:13], v[246:247]
	v_fmac_f64_e32 v[84:85], s[46:47], v[184:185]
	v_add_f64 v[94:95], v[94:95], v[96:97]
	v_mul_f64 v[100:101], v[170:171], s[34:35]
	v_fma_f64 v[106:107], s[52:53], v[152:153], v[104:105]
	v_add_f64 v[110:111], v[110:111], v[224:225]
	v_mul_f64 v[232:233], v[156:157], s[42:43]
	v_fma_f64 v[238:239], s[26:27], v[134:135], v[236:237]
	v_add_f64 v[242:243], v[242:243], v[246:247]
	v_add_f64 v[86:87], v[84:85], v[86:87]
	v_fma_f64 v[84:85], v[172:173], s[18:19], -v[90:91]
	v_fma_f64 v[90:91], v[162:163], s[14:15], -v[102:103]
	v_add_f64 v[92:93], v[92:93], v[94:95]
	v_mul_f64 v[96:97], v[182:183], s[22:23]
	v_fma_f64 v[102:103], s[38:39], v[158:159], v[100:101]
	v_add_f64 v[106:107], v[106:107], v[110:111]
	v_mul_f64 v[228:229], v[160:161], s[54:55]
	v_fma_f64 v[234:235], s[40:41], v[146:147], v[232:233]
	v_add_f64 v[238:239], v[238:239], v[242:243]
	v_add_f64 v[90:91], v[90:91], v[92:93]
	v_mul_f64 v[94:95], v[190:191], s[14:15]
	v_fma_f64 v[98:99], s[36:37], v[168:169], v[96:97]
	v_add_f64 v[102:103], v[102:103], v[106:107]
	v_mul_f64 v[110:111], v[174:175], s[44:45]
	v_fma_f64 v[230:231], s[34:35], v[150:151], v[228:229]
	v_add_f64 v[234:235], v[234:235], v[238:239]
	;; [unrolled: 7-line block ×3, first 2 shown]
	v_add_f64 v[84:85], v[84:85], v[88:89]
	v_fma_f64 v[88:89], s[10:11], v[184:185], v[92:93]
	v_add_f64 v[90:91], v[90:91], v[98:99]
	v_mul_f64 v[98:99], v[186:187], s[56:57]
	v_fma_f64 v[106:107], s[14:15], v[166:167], v[102:103]
	v_add_f64 v[224:225], v[224:225], v[230:231]
	v_add_f64 v[90:91], v[88:89], v[90:91]
	v_fma_f64 v[88:89], s[4:5], v[172:173], v[98:99]
	v_add_f64 v[106:107], v[106:107], v[224:225]
	v_fmac_f64_e32 v[226:227], s[16:17], v[128:129]
	v_add_f64 v[88:89], v[88:89], v[106:107]
	v_fmac_f64_e32 v[222:223], s[28:29], v[136:137]
	v_add_f64 v[106:107], v[14:15], v[226:227]
	v_fmac_f64_e32 v[108:109], s[30:31], v[142:143]
	v_add_f64 v[106:107], v[222:223], v[106:107]
	v_fmac_f64_e32 v[104:105], s[42:43], v[152:153]
	v_add_f64 v[106:107], v[108:109], v[106:107]
	v_fmac_f64_e32 v[100:101], s[54:55], v[158:159]
	v_add_f64 v[104:105], v[104:105], v[106:107]
	v_fmac_f64_e32 v[96:97], s[44:45], v[168:169]
	v_add_f64 v[100:101], v[100:101], v[104:105]
	v_fma_f64 v[108:109], v[126:127], s[12:13], -v[244:245]
	v_mul_f64 v[234:235], v[138:139], s[18:19]
	v_fmac_f64_e32 v[94:95], s[50:51], v[176:177]
	v_add_f64 v[96:97], v[96:97], v[100:101]
	v_fma_f64 v[104:105], v[134:135], s[26:27], -v[236:237]
	v_fma_f64 v[106:107], v[132:133], s[18:19], -v[240:241]
	v_add_f64 v[108:109], v[12:13], v[108:109]
	v_mul_f64 v[230:231], v[148:149], s[40:41]
	v_fma_f64 v[236:237], s[28:29], v[128:129], v[234:235]
	v_mul_f64 v[248:249], v[130:131], s[46:47]
	v_add_f64 v[94:95], v[94:95], v[96:97]
	v_fma_f64 v[96:97], v[166:167], s[14:15], -v[102:103]
	v_fma_f64 v[102:103], v[146:147], s[40:41], -v[232:233]
	v_add_f64 v[106:107], v[106:107], v[108:109]
	v_mul_f64 v[226:227], v[154:155], s[22:23]
	v_fma_f64 v[232:233], s[42:43], v[136:137], v[230:231]
	v_add_f64 v[236:237], v[14:15], v[236:237]
	v_mul_f64 v[244:245], v[140:141], s[52:53]
	v_fma_f64 v[250:251], s[18:19], v[126:127], v[248:249]
	v_fma_f64 v[100:101], v[150:151], s[34:35], -v[228:229]
	v_add_f64 v[104:105], v[104:105], v[106:107]
	v_mul_f64 v[222:223], v[164:165], s[4:5]
	v_fma_f64 v[228:229], s[44:45], v[142:143], v[226:227]
	v_add_f64 v[232:233], v[232:233], v[236:237]
	v_mul_f64 v[242:243], v[144:145], s[36:37]
	v_fma_f64 v[246:247], s[40:41], v[132:133], v[244:245]
	v_add_f64 v[250:251], v[12:13], v[250:251]
	v_fmac_f64_e32 v[92:93], s[56:57], v[184:185]
	v_add_f64 v[102:103], v[102:103], v[104:105]
	v_mul_f64 v[108:109], v[170:171], s[14:15]
	v_fma_f64 v[224:225], s[56:57], v[152:153], v[222:223]
	v_add_f64 v[228:229], v[228:229], v[232:233]
	v_mul_f64 v[240:241], v[156:157], s[10:11]
	v_add_f64 v[246:247], v[246:247], v[250:251]
	v_fma_f64 v[250:251], s[22:23], v[134:135], v[242:243]
	v_add_f64 v[94:95], v[92:93], v[94:95]
	v_fma_f64 v[92:93], v[172:173], s[4:5], -v[98:99]
	v_fma_f64 v[98:99], v[162:163], s[22:23], -v[110:111]
	v_add_f64 v[100:101], v[100:101], v[102:103]
	v_mul_f64 v[104:105], v[182:183], s[34:35]
	v_fma_f64 v[110:111], s[24:25], v[158:159], v[108:109]
	v_add_f64 v[224:225], v[224:225], v[228:229]
	v_mul_f64 v[236:237], v[160:161], s[50:51]
	v_add_f64 v[246:247], v[250:251], v[246:247]
	v_fma_f64 v[250:251], s[4:5], v[146:147], v[240:241]
	v_add_f64 v[98:99], v[98:99], v[100:101]
	v_mul_f64 v[102:103], v[190:191], s[26:27]
	v_fma_f64 v[106:107], s[38:39], v[168:169], v[104:105]
	v_add_f64 v[110:111], v[110:111], v[224:225]
	v_mul_f64 v[228:229], v[174:175], s[54:55]
	v_fma_f64 v[238:239], s[14:15], v[150:151], v[236:237]
	v_add_f64 v[246:247], v[250:251], v[246:247]
	v_add_f64 v[96:97], v[96:97], v[98:99]
	v_mul_f64 v[100:101], v[194:195], s[12:13]
	v_fma_f64 v[98:99], s[58:59], v[176:177], v[102:103]
	v_add_f64 v[106:107], v[106:107], v[110:111]
	v_mul_f64 v[110:111], v[178:179], s[30:31]
	v_fma_f64 v[232:233], s[34:35], v[162:163], v[228:229]
	v_add_f64 v[238:239], v[238:239], v[246:247]
	v_add_f64 v[92:93], v[92:93], v[96:97]
	v_fma_f64 v[96:97], s[48:49], v[184:185], v[100:101]
	v_add_f64 v[98:99], v[98:99], v[106:107]
	v_mul_f64 v[106:107], v[186:187], s[16:17]
	v_fma_f64 v[224:225], s[26:27], v[166:167], v[110:111]
	v_add_f64 v[232:233], v[232:233], v[238:239]
	v_add_f64 v[98:99], v[96:97], v[98:99]
	v_fma_f64 v[96:97], s[12:13], v[172:173], v[106:107]
	v_add_f64 v[224:225], v[224:225], v[232:233]
	v_fmac_f64_e32 v[234:235], s[46:47], v[128:129]
	v_add_f64 v[96:97], v[96:97], v[224:225]
	v_fmac_f64_e32 v[230:231], s[52:53], v[136:137]
	;; [unrolled: 2-line block ×6, first 2 shown]
	v_add_f64 v[108:109], v[108:109], v[222:223]
	v_fma_f64 v[222:223], v[134:135], s[22:23], -v[242:243]
	v_fma_f64 v[226:227], v[126:127], s[18:19], -v[248:249]
	v_mul_f64 v[242:243], v[138:139], s[34:35]
	v_fmac_f64_e32 v[102:103], s[30:31], v[176:177]
	v_add_f64 v[104:105], v[104:105], v[108:109]
	v_fma_f64 v[224:225], v[132:133], s[40:41], -v[244:245]
	v_add_f64 v[226:227], v[12:13], v[226:227]
	v_mul_f64 v[238:239], v[148:149], s[14:15]
	v_fma_f64 v[244:245], s[54:55], v[128:129], v[242:243]
	v_add_f64 v[102:103], v[102:103], v[104:105]
	v_fma_f64 v[104:105], v[166:167], s[26:27], -v[110:111]
	v_fma_f64 v[110:111], v[146:147], s[4:5], -v[240:241]
	v_add_f64 v[224:225], v[224:225], v[226:227]
	v_mul_f64 v[234:235], v[154:155], s[18:19]
	v_fma_f64 v[240:241], s[24:25], v[136:137], v[238:239]
	v_add_f64 v[244:245], v[14:15], v[244:245]
	v_fma_f64 v[108:109], v[150:151], s[14:15], -v[236:237]
	v_add_f64 v[222:223], v[222:223], v[224:225]
	v_mul_f64 v[230:231], v[164:165], s[26:27]
	v_fma_f64 v[236:237], s[46:47], v[142:143], v[234:235]
	v_add_f64 v[240:241], v[240:241], v[244:245]
	v_fmac_f64_e32 v[100:101], s[16:17], v[184:185]
	v_add_f64 v[110:111], v[110:111], v[222:223]
	v_mul_f64 v[226:227], v[170:171], s[4:5]
	v_fma_f64 v[232:233], s[30:31], v[152:153], v[230:231]
	v_add_f64 v[236:237], v[236:237], v[240:241]
	v_add_f64 v[102:103], v[100:101], v[102:103]
	v_fma_f64 v[100:101], v[172:173], s[12:13], -v[106:107]
	v_fma_f64 v[106:107], v[162:163], s[34:35], -v[228:229]
	v_add_f64 v[108:109], v[108:109], v[110:111]
	v_mul_f64 v[222:223], v[182:183], s[40:41]
	v_fma_f64 v[228:229], s[56:57], v[158:159], v[226:227]
	v_add_f64 v[232:233], v[232:233], v[236:237]
	v_add_f64 v[106:107], v[106:107], v[108:109]
	v_mul_f64 v[110:111], v[190:191], s[12:13]
	v_fma_f64 v[224:225], s[52:53], v[168:169], v[222:223]
	v_add_f64 v[228:229], v[228:229], v[232:233]
	;; [unrolled: 4-line block ×3, first 2 shown]
	v_mul_f64 v[248:249], v[130:131], s[38:39]
	v_add_f64 v[100:101], v[100:101], v[104:105]
	v_fma_f64 v[104:105], s[44:45], v[184:185], v[108:109]
	v_add_f64 v[106:107], v[106:107], v[224:225]
	v_mul_f64 v[246:247], v[140:141], s[50:51]
	v_fma_f64 v[250:251], s[34:35], v[126:127], v[248:249]
	v_add_f64 v[106:107], v[104:105], v[106:107]
	v_mul_f64 v[244:245], v[144:145], s[28:29]
	;; [unrolled: 3-line block ×3, first 2 shown]
	v_add_f64 v[104:105], v[104:105], v[250:251]
	v_fma_f64 v[250:251], s[18:19], v[134:135], v[244:245]
	v_mul_f64 v[236:237], v[160:161], s[10:11]
	v_add_f64 v[104:105], v[250:251], v[104:105]
	v_fma_f64 v[250:251], s[26:27], v[146:147], v[240:241]
	v_mul_f64 v[232:233], v[174:175], s[42:43]
	;; [unrolled: 3-line block ×3, first 2 shown]
	v_add_f64 v[104:105], v[250:251], v[104:105]
	v_fma_f64 v[250:251], s[40:41], v[162:163], v[232:233]
	v_fmac_f64_e32 v[242:243], s[38:39], v[128:129]
	v_mul_f64 v[224:225], v[186:187], s[36:37]
	v_add_f64 v[104:105], v[250:251], v[104:105]
	v_fma_f64 v[250:251], s[12:13], v[166:167], v[228:229]
	v_fmac_f64_e32 v[238:239], s[50:51], v[136:137]
	v_add_f64 v[242:243], v[14:15], v[242:243]
	v_add_f64 v[104:105], v[250:251], v[104:105]
	v_fma_f64 v[250:251], s[22:23], v[172:173], v[224:225]
	v_add_f64 v[238:239], v[238:239], v[242:243]
	v_fmac_f64_e32 v[234:235], s[28:29], v[142:143]
	v_add_f64 v[104:105], v[250:251], v[104:105]
	v_mul_f64 v[250:251], v[138:139], s[4:5]
	v_add_f64 v[234:235], v[234:235], v[238:239]
	v_fmac_f64_e32 v[230:231], s[58:59], v[152:153]
	v_fma_f64 v[248:249], v[126:127], s[34:35], -v[248:249]
	v_mul_f64 v[242:243], v[148:149], s[12:13]
	v_add_f64 v[230:231], v[230:231], v[234:235]
	v_fmac_f64_e32 v[226:227], s[10:11], v[158:159]
	v_fma_f64 v[246:247], v[132:133], s[14:15], -v[246:247]
	v_add_f64 v[248:249], v[12:13], v[248:249]
	v_add_f64 v[114:115], v[114:115], v[250:251]
	v_mul_f64 v[234:235], v[154:155], s[14:15]
	v_add_f64 v[226:227], v[226:227], v[230:231]
	v_fmac_f64_e32 v[222:223], s[42:43], v[168:169]
	v_add_f64 v[246:247], v[246:247], v[248:249]
	v_fma_f64 v[244:245], v[134:135], s[18:19], -v[244:245]
	v_add_f64 v[118:119], v[118:119], v[242:243]
	v_add_f64 v[114:115], v[14:15], v[114:115]
	;; [unrolled: 1-line block ×3, first 2 shown]
	v_mul_f64 v[226:227], v[164:165], s[18:19]
	v_add_f64 v[244:245], v[244:245], v[246:247]
	v_fma_f64 v[240:241], v[146:147], s[26:27], -v[240:241]
	v_add_f64 v[188:189], v[188:189], v[234:235]
	v_add_f64 v[114:115], v[118:119], v[114:115]
	v_mul_f64 v[248:249], v[170:171], s[22:23]
	v_add_f64 v[240:241], v[240:241], v[244:245]
	v_fma_f64 v[236:237], v[150:151], s[4:5], -v[236:237]
	v_add_f64 v[198:199], v[198:199], v[226:227]
	v_add_f64 v[114:115], v[188:189], v[114:115]
	v_fmac_f64_e32 v[110:111], s[48:49], v[176:177]
	v_mul_f64 v[244:245], v[182:183], s[26:27]
	v_add_f64 v[236:237], v[236:237], v[240:241]
	v_fma_f64 v[232:233], v[162:163], s[40:41], -v[232:233]
	v_add_f64 v[200:201], v[200:201], v[248:249]
	v_add_f64 v[114:115], v[198:199], v[114:115]
	v_mul_f64 v[212:213], v[126:127], s[4:5]
	v_add_f64 v[110:111], v[110:111], v[222:223]
	v_add_f64 v[232:233], v[232:233], v[236:237]
	v_mul_f64 v[236:237], v[190:191], s[34:35]
	v_fmac_f64_e32 v[108:109], s[36:37], v[184:185]
	v_add_f64 v[206:207], v[206:207], v[244:245]
	v_add_f64 v[114:115], v[200:201], v[114:115]
	v_mul_f64 v[252:253], v[132:133], s[12:13]
	v_add_f64 v[110:111], v[108:109], v[110:111]
	v_fma_f64 v[108:109], v[172:173], s[22:23], -v[224:225]
	v_mul_f64 v[224:225], v[194:195], s[40:41]
	v_add_f64 v[208:209], v[208:209], v[236:237]
	v_add_f64 v[114:115], v[206:207], v[114:115]
	v_add_f64 v[112:113], v[212:213], -v[112:113]
	v_mul_f64 v[238:239], v[134:135], s[14:15]
	v_fma_f64 v[228:229], v[166:167], s[12:13], -v[228:229]
	v_add_f64 v[214:215], v[214:215], v[224:225]
	v_add_f64 v[114:115], v[208:209], v[114:115]
	v_add_f64 v[116:117], v[252:253], -v[116:117]
	v_add_f64 v[112:113], v[12:13], v[112:113]
	v_mul_f64 v[230:231], v[146:147], s[18:19]
	v_mul_f64 v[222:223], v[150:151], s[22:23]
	v_add_f64 v[228:229], v[228:229], v[232:233]
	v_mul_f64 v[232:233], v[172:173], s[40:41]
	v_add_f64 v[118:119], v[214:215], v[114:115]
	v_add_f64 v[180:181], v[238:239], -v[180:181]
	v_add_f64 v[112:113], v[116:117], v[112:113]
	v_mul_f64 v[214:215], v[138:139], s[22:23]
	v_mul_f64 v[240:241], v[166:167], s[34:35]
	v_add_f64 v[114:115], v[232:233], -v[210:211]
	v_add_f64 v[196:197], v[222:223], -v[196:197]
	v_add_f64 v[192:193], v[230:231], -v[192:193]
	v_add_f64 v[112:113], v[180:181], v[112:113]
	v_mul_f64 v[210:211], v[148:149], s[34:35]
	v_fma_f64 v[222:223], s[36:37], v[128:129], v[214:215]
	v_mul_f64 v[238:239], v[130:131], s[44:45]
	v_mul_f64 v[246:247], v[162:163], s[26:27]
	v_add_f64 v[188:189], v[240:241], -v[204:205]
	v_add_f64 v[112:113], v[192:193], v[112:113]
	v_mul_f64 v[206:207], v[154:155], s[12:13]
	v_fma_f64 v[212:213], s[54:55], v[136:137], v[210:211]
	v_add_f64 v[222:223], v[14:15], v[222:223]
	v_mul_f64 v[234:235], v[140:141], s[38:39]
	v_fma_f64 v[240:241], s[22:23], v[126:127], v[238:239]
	v_add_f64 v[198:199], v[246:247], -v[202:203]
	v_add_f64 v[112:113], v[196:197], v[112:113]
	v_mul_f64 v[202:203], v[164:165], s[14:15]
	v_fma_f64 v[208:209], s[48:49], v[142:143], v[206:207]
	v_add_f64 v[212:213], v[212:213], v[222:223]
	v_mul_f64 v[230:231], v[144:145], s[16:17]
	v_fma_f64 v[236:237], s[34:35], v[132:133], v[234:235]
	v_add_f64 v[240:241], v[12:13], v[240:241]
	v_add_f64 v[112:113], v[198:199], v[112:113]
	v_mul_f64 v[198:199], v[170:171], s[40:41]
	v_fma_f64 v[204:205], s[24:25], v[152:153], v[202:203]
	v_add_f64 v[208:209], v[208:209], v[212:213]
	v_mul_f64 v[226:227], v[156:157], s[50:51]
	v_fma_f64 v[232:233], s[12:13], v[134:135], v[230:231]
	v_add_f64 v[236:237], v[236:237], v[240:241]
	;; [unrolled: 7-line block ×5, first 2 shown]
	v_fma_f64 v[112:113], s[30:31], v[184:185], v[180:181]
	v_add_f64 v[114:115], v[114:115], v[196:197]
	v_mul_f64 v[196:197], v[186:187], s[58:59]
	v_fma_f64 v[204:205], s[4:5], v[166:167], v[200:201]
	v_add_f64 v[212:213], v[212:213], v[224:225]
	v_add_f64 v[114:115], v[112:113], v[114:115]
	v_fma_f64 v[112:113], s[26:27], v[172:173], v[196:197]
	v_add_f64 v[204:205], v[204:205], v[212:213]
	v_fmac_f64_e32 v[214:215], s[44:45], v[128:129]
	v_add_f64 v[112:113], v[112:113], v[204:205]
	v_fmac_f64_e32 v[210:211], s[38:39], v[136:137]
	v_add_f64 v[204:205], v[14:15], v[214:215]
	v_add_f64 v[8:9], v[12:13], v[8:9]
	v_fmac_f64_e32 v[206:207], s[16:17], v[142:143]
	v_add_f64 v[204:205], v[210:211], v[204:205]
	v_add_f64 v[10:11], v[14:15], v[10:11]
	v_add_f64 v[8:9], v[8:9], v[16:17]
	v_fmac_f64_e32 v[202:203], s[50:51], v[152:153]
	v_add_f64 v[204:205], v[206:207], v[204:205]
	;; [unrolled: 4-line block ×4, first 2 shown]
	v_fma_f64 v[206:207], v[126:127], s[22:23], -v[238:239]
	v_add_f64 v[10:11], v[10:11], v[38:39]
	v_add_f64 v[8:9], v[8:9], v[40:41]
	v_fmac_f64_e32 v[188:189], s[56:57], v[176:177]
	v_add_f64 v[192:193], v[192:193], v[198:199]
	v_fma_f64 v[204:205], v[132:133], s[34:35], -v[234:235]
	v_add_f64 v[206:207], v[12:13], v[206:207]
	v_add_f64 v[10:11], v[10:11], v[42:43]
	;; [unrolled: 1-line block ×3, first 2 shown]
	v_fmac_f64_e32 v[180:181], s[58:59], v[184:185]
	v_add_f64 v[188:189], v[188:189], v[192:193]
	v_fma_f64 v[202:203], v[134:135], s[12:13], -v[230:231]
	v_add_f64 v[204:205], v[204:205], v[206:207]
	v_mul_f64 v[138:139], v[138:139], s[26:27]
	v_add_f64 v[10:11], v[10:11], v[54:55]
	v_add_f64 v[8:9], v[8:9], v[56:57]
	;; [unrolled: 1-line block ×3, first 2 shown]
	v_fma_f64 v[188:189], v[166:167], s[4:5], -v[200:201]
	v_fma_f64 v[192:193], v[162:163], s[18:19], -v[208:209]
	;; [unrolled: 1-line block ×3, first 2 shown]
	v_add_f64 v[202:203], v[202:203], v[204:205]
	v_mul_f64 v[148:149], v[148:149], s[22:23]
	v_fma_f64 v[208:209], s[58:59], v[128:129], v[138:139]
	v_add_f64 v[10:11], v[10:11], v[58:59]
	v_add_f64 v[8:9], v[8:9], v[64:65]
	v_fma_f64 v[180:181], v[172:173], s[26:27], -v[196:197]
	v_fma_f64 v[196:197], v[150:151], s[40:41], -v[222:223]
	v_add_f64 v[200:201], v[200:201], v[202:203]
	v_mul_f64 v[154:155], v[154:155], s[4:5]
	v_fma_f64 v[206:207], s[36:37], v[136:137], v[148:149]
	v_add_f64 v[208:209], v[14:15], v[208:209]
	v_mul_f64 v[130:131], v[130:131], s[30:31]
	v_add_f64 v[10:11], v[10:11], v[66:67]
	v_add_f64 v[8:9], v[8:9], v[68:69]
	;; [unrolled: 1-line block ×3, first 2 shown]
	v_mul_f64 v[164:165], v[164:165], s[34:35]
	v_fma_f64 v[204:205], s[56:57], v[142:143], v[154:155]
	v_add_f64 v[206:207], v[206:207], v[208:209]
	v_mul_f64 v[140:141], v[140:141], s[44:45]
	v_fma_f64 v[210:211], s[26:27], v[126:127], v[130:131]
	v_fmac_f64_e32 v[138:139], s[30:31], v[128:129]
	v_fma_f64 v[126:127], v[126:127], s[26:27], -v[130:131]
	v_add_f64 v[10:11], v[10:11], v[70:71]
	v_add_f64 v[8:9], v[8:9], v[60:61]
	;; [unrolled: 1-line block ×3, first 2 shown]
	v_mul_f64 v[170:171], v[170:171], s[18:19]
	v_fma_f64 v[202:203], s[54:55], v[152:153], v[164:165]
	v_add_f64 v[204:205], v[204:205], v[206:207]
	v_mul_f64 v[144:145], v[144:145], s[10:11]
	v_fma_f64 v[208:209], s[22:23], v[132:133], v[140:141]
	v_add_f64 v[210:211], v[12:13], v[210:211]
	v_fmac_f64_e32 v[148:149], s[44:45], v[136:137]
	v_add_f64 v[128:129], v[14:15], v[138:139]
	v_fma_f64 v[132:133], v[132:133], s[22:23], -v[140:141]
	v_add_f64 v[126:127], v[12:13], v[126:127]
	v_add_f64 v[10:11], v[10:11], v[62:63]
	;; [unrolled: 1-line block ×4, first 2 shown]
	v_mul_f64 v[182:183], v[182:183], s[12:13]
	v_fma_f64 v[200:201], s[28:29], v[158:159], v[170:171]
	v_add_f64 v[202:203], v[202:203], v[204:205]
	v_mul_f64 v[156:157], v[156:157], s[38:39]
	v_fma_f64 v[206:207], s[4:5], v[134:135], v[144:145]
	v_add_f64 v[208:209], v[208:209], v[210:211]
	v_fmac_f64_e32 v[154:155], s[10:11], v[142:143]
	v_add_f64 v[128:129], v[148:149], v[128:129]
	v_fma_f64 v[134:135], v[134:135], s[4:5], -v[144:145]
	v_add_f64 v[126:127], v[132:133], v[126:127]
	v_add_f64 v[10:11], v[10:11], v[50:51]
	;; [unrolled: 1-line block ×4, first 2 shown]
	v_mul_f64 v[188:189], v[194:195], s[14:15]
	v_mul_f64 v[190:191], v[190:191], s[40:41]
	v_fma_f64 v[194:195], s[48:49], v[168:169], v[182:183]
	v_add_f64 v[200:201], v[200:201], v[202:203]
	v_mul_f64 v[160:161], v[160:161], s[46:47]
	v_fma_f64 v[204:205], s[34:35], v[146:147], v[156:157]
	v_add_f64 v[206:207], v[206:207], v[208:209]
	v_fmac_f64_e32 v[164:165], s[38:39], v[152:153]
	v_add_f64 v[128:129], v[154:155], v[128:129]
	v_fma_f64 v[146:147], v[146:147], s[34:35], -v[156:157]
	v_add_f64 v[126:127], v[134:135], v[126:127]
	v_add_f64 v[10:11], v[10:11], v[46:47]
	;; [unrolled: 1-line block ×3, first 2 shown]
	v_fma_f64 v[192:193], s[52:53], v[176:177], v[190:191]
	v_add_f64 v[194:195], v[194:195], v[200:201]
	v_mul_f64 v[174:175], v[174:175], s[16:17]
	v_fma_f64 v[202:203], s[18:19], v[150:151], v[160:161]
	v_add_f64 v[204:205], v[204:205], v[206:207]
	v_fmac_f64_e32 v[170:171], s[46:47], v[158:159]
	v_add_f64 v[128:129], v[164:165], v[128:129]
	v_fma_f64 v[148:149], v[150:151], s[18:19], -v[160:161]
	v_add_f64 v[126:127], v[146:147], v[126:127]
	v_add_f64 v[10:11], v[10:11], v[34:35]
	;; [unrolled: 1-line block ×4, first 2 shown]
	v_mul_f64 v[194:195], v[178:179], s[42:43]
	v_fma_f64 v[200:201], s[12:13], v[162:163], v[174:175]
	v_add_f64 v[202:203], v[202:203], v[204:205]
	v_fmac_f64_e32 v[182:183], s[16:17], v[168:169]
	v_add_f64 v[128:129], v[170:171], v[128:129]
	v_fma_f64 v[142:143], v[162:163], s[12:13], -v[174:175]
	v_add_f64 v[126:127], v[148:149], v[126:127]
	v_add_f64 v[10:11], v[10:11], v[30:31]
	;; [unrolled: 1-line block ×3, first 2 shown]
	v_fma_f64 v[180:181], s[24:25], v[184:185], v[188:189]
	v_mul_f64 v[186:187], v[186:187], s[50:51]
	v_fma_f64 v[178:179], s[40:41], v[166:167], v[194:195]
	v_add_f64 v[200:201], v[200:201], v[202:203]
	v_fmac_f64_e32 v[190:191], s[42:43], v[176:177]
	v_add_f64 v[128:129], v[182:183], v[128:129]
	v_fma_f64 v[138:139], v[166:167], s[40:41], -v[194:195]
	v_add_f64 v[126:127], v[142:143], v[126:127]
	v_add_f64 v[10:11], v[10:11], v[26:27]
	;; [unrolled: 1-line block ×3, first 2 shown]
	v_mul_u32_u24_e32 v8, 0x110, v124
	v_add_f64 v[180:181], v[180:181], v[192:193]
	v_fma_f64 v[192:193], s[14:15], v[172:173], v[186:187]
	v_add_f64 v[178:179], v[178:179], v[200:201]
	v_fmac_f64_e32 v[188:189], s[50:51], v[184:185]
	v_add_f64 v[128:129], v[190:191], v[128:129]
	v_fma_f64 v[136:137], v[172:173], s[14:15], -v[186:187]
	v_add_f64 v[126:127], v[138:139], v[126:127]
	v_add_f64 v[6:7], v[10:11], v[6:7]
	v_add3_u32 v8, 0, v8, v221
	v_add_f64 v[178:179], v[192:193], v[178:179]
	v_add_f64 v[128:129], v[188:189], v[128:129]
	;; [unrolled: 1-line block ×3, first 2 shown]
	ds_write_b128 v8, v[4:7]
	ds_write_b128 v8, v[126:129] offset:16
	ds_write_b128 v8, v[196:199] offset:32
	;; [unrolled: 1-line block ×16, first 2 shown]
.LBB0_14:
	s_or_b64 exec, exec, s[20:21]
	s_movk_i32 s4, 0xf1
	v_add_u16_e32 v64, 0xaa, v124
	v_mul_lo_u16_sdwa v13, v64, s4 dst_sel:DWORD dst_unused:UNUSED_PAD src0_sel:BYTE_0 src1_sel:DWORD
	v_mul_lo_u16_sdwa v68, v124, s4 dst_sel:DWORD dst_unused:UNUSED_PAD src0_sel:BYTE_0 src1_sel:DWORD
	v_lshrrev_b16_e32 v109, 12, v13
	v_lshrrev_b16_e32 v69, 12, v68
	v_add_u16_e32 v66, 0x55, v124
	v_mul_lo_u16_e32 v13, 17, v109
	v_add_u32_e32 v12, 0xff, v124
	v_mul_lo_u16_e32 v4, 17, v69
	v_mov_b32_e32 v65, 4
	v_mul_lo_u16_sdwa v67, v66, s4 dst_sel:DWORD dst_unused:UNUSED_PAD src0_sel:BYTE_0 src1_sel:DWORD
	v_sub_u16_e32 v13, v64, v13
	s_mov_b32 s4, 0xf0f1
	v_sub_u16_e32 v4, v124, v4
	v_lshrrev_b16_e32 v107, 12, v67
	v_lshlrev_b32_sdwa v110, v65, v13 dst_sel:DWORD dst_unused:UNUSED_PAD src0_sel:DWORD src1_sel:BYTE_0
	v_mul_u32_u24_sdwa v13, v12, s4 dst_sel:DWORD dst_unused:UNUSED_PAD src0_sel:WORD_0 src1_sel:DWORD
	v_add_u32_e32 v20, 0x1fe, v124
	v_lshlrev_b32_sdwa v106, v65, v4 dst_sel:DWORD dst_unused:UNUSED_PAD src0_sel:DWORD src1_sel:BYTE_0
	v_mul_lo_u16_e32 v4, 17, v107
	v_lshrrev_b32_e32 v111, 20, v13
	v_mul_u32_u24_sdwa v21, v20, s4 dst_sel:DWORD dst_unused:UNUSED_PAD src0_sel:WORD_0 src1_sel:DWORD
	v_sub_u16_e32 v4, v66, v4
	v_mul_lo_u16_e32 v13, 17, v111
	v_lshrrev_b32_e32 v113, 20, v21
	s_load_dwordx2 s[2:3], s[2:3], 0x0
	s_waitcnt lgkmcnt(0)
	s_barrier
	v_lshlrev_b32_sdwa v108, v65, v4 dst_sel:DWORD dst_unused:UNUSED_PAD src0_sel:DWORD src1_sel:BYTE_0
	global_load_dwordx4 v[4:7], v106, s[8:9]
	global_load_dwordx4 v[8:11], v108, s[8:9]
	v_sub_u16_e32 v16, v12, v13
	v_mul_lo_u16_e32 v21, 17, v113
	v_lshlrev_b32_e32 v112, 4, v16
	v_sub_u16_e32 v20, v20, v21
	v_add_u32_e32 v60, 0x154, v124
	global_load_dwordx4 v[12:15], v110, s[8:9]
	global_load_dwordx4 v[16:19], v112, s[8:9]
	v_lshlrev_b32_e32 v114, 4, v20
	v_mul_u32_u24_sdwa v24, v60, s4 dst_sel:DWORD dst_unused:UNUSED_PAD src0_sel:WORD_0 src1_sel:DWORD
	global_load_dwordx4 v[20:23], v114, s[8:9]
	v_add_u32_e32 v62, 0x1a9, v124
	v_lshrrev_b32_e32 v115, 20, v24
	v_mul_u32_u24_sdwa v25, v62, s4 dst_sel:DWORD dst_unused:UNUSED_PAD src0_sel:WORD_0 src1_sel:DWORD
	v_mul_lo_u16_e32 v24, 17, v115
	v_lshrrev_b32_e32 v116, 20, v25
	v_sub_u16_e32 v24, v60, v24
	v_lshlrev_b32_e32 v117, 4, v24
	global_load_dwordx4 v[24:27], v117, s[8:9]
	v_mul_lo_u16_e32 v28, 17, v116
	v_sub_u16_e32 v28, v62, v28
	v_lshlrev_b32_e32 v118, 4, v28
	global_load_dwordx4 v[28:31], v118, s[8:9]
	ds_read_b128 v[32:35], v217
	ds_read_b128 v[36:39], v218 offset:1360
	ds_read_b128 v[40:43], v218 offset:10880
	;; [unrolled: 1-line block ×11, first 2 shown]
	s_movk_i32 s4, 0x220
	v_lshlrev_b32_e32 v61, 4, v60
	v_lshlrev_b32_e32 v63, 4, v62
	v_add3_u32 v61, 0, v61, v221
	v_add3_u32 v63, 0, v63, v221
	ds_read_b128 v[90:93], v61
	ds_read_b128 v[94:97], v63
	s_mov_b32 s5, 0x5040100
	s_waitcnt lgkmcnt(0)
	s_barrier
	s_waitcnt vmcnt(6)
	v_mul_f64 v[98:99], v[76:77], v[6:7]
	v_mul_f64 v[6:7], v[74:75], v[6:7]
	s_waitcnt vmcnt(5)
	v_mul_f64 v[100:101], v[42:43], v[10:11]
	v_fma_f64 v[74:75], v[74:75], v[4:5], -v[98:99]
	v_fmac_f64_e32 v[6:7], v[76:77], v[4:5]
	v_fma_f64 v[4:5], v[40:41], v[8:9], -v[100:101]
	v_mul_f64 v[10:11], v[40:41], v[10:11]
	s_waitcnt vmcnt(4)
	v_mul_f64 v[102:103], v[46:47], v[14:15]
	v_mul_f64 v[14:15], v[44:45], v[14:15]
	s_waitcnt vmcnt(3)
	v_mul_f64 v[104:105], v[58:59], v[18:19]
	v_mul_f64 v[18:19], v[56:57], v[18:19]
	v_add_f64 v[40:41], v[36:37], -v[4:5]
	v_mad_u32_u24 v4, v69, s4, 0
	v_fmac_f64_e32 v[10:11], v[42:43], v[8:9]
	v_fma_f64 v[8:9], v[44:45], v[12:13], -v[102:103]
	v_fmac_f64_e32 v[14:15], v[46:47], v[12:13]
	v_fma_f64 v[12:13], v[56:57], v[16:17], -v[104:105]
	v_fmac_f64_e32 v[18:19], v[58:59], v[16:17]
	s_waitcnt vmcnt(2)
	v_mul_f64 v[16:17], v[88:89], v[22:23]
	v_mul_f64 v[76:77], v[86:87], v[22:23]
	v_add3_u32 v69, v4, v106, v221
	v_mad_u32_u24 v4, v107, s4, 0
	v_fma_f64 v[16:17], v[86:87], v[20:21], -v[16:17]
	v_fmac_f64_e32 v[76:77], v[88:89], v[20:21]
	v_add_f64 v[20:21], v[32:33], -v[74:75]
	v_add_f64 v[22:23], v[34:35], -v[6:7]
	v_add3_u32 v74, v4, v108, v221
	v_mad_u32_u24 v4, v109, s4, 0
	v_fma_f64 v[32:33], v[32:33], 2.0, -v[20:21]
	v_fma_f64 v[34:35], v[34:35], 2.0, -v[22:23]
	v_add_f64 v[42:43], v[38:39], -v[10:11]
	v_add_f64 v[44:45], v[48:49], -v[8:9]
	v_add_f64 v[46:47], v[50:51], -v[14:15]
	v_add_f64 v[56:57], v[52:53], -v[12:13]
	v_add_f64 v[58:59], v[54:55], -v[18:19]
	v_add3_u32 v75, v4, v110, v221
	v_mad_u32_u24 v4, v111, s4, 0
	v_fma_f64 v[36:37], v[36:37], 2.0, -v[40:41]
	v_fma_f64 v[38:39], v[38:39], 2.0, -v[42:43]
	;; [unrolled: 1-line block ×6, first 2 shown]
	v_add_f64 v[14:15], v[80:81], -v[76:77]
	v_add3_u32 v76, v4, v112, v221
	ds_write_b128 v69, v[32:35]
	ds_write_b128 v69, v[20:23] offset:272
	ds_write_b128 v74, v[36:39]
	ds_write_b128 v74, v[40:43] offset:272
	;; [unrolled: 2-line block ×4, first 2 shown]
	v_perm_b32 v20, v116, v115, s5
	s_waitcnt vmcnt(1)
	v_mul_f64 v[4:5], v[72:73], v[26:27]
	v_mul_f64 v[6:7], v[70:71], v[26:27]
	v_pk_mul_lo_u16 v20, v20, s4 op_sel_hi:[1,0]
	v_fma_f64 v[4:5], v[70:71], v[24:25], -v[4:5]
	v_fmac_f64_e32 v[6:7], v[72:73], v[24:25]
	v_and_b32_e32 v21, 0xffe0, v20
	v_add_f64 v[12:13], v[78:79], -v[16:17]
	s_waitcnt vmcnt(0)
	v_mul_f64 v[16:17], v[84:85], v[30:31]
	v_mul_f64 v[18:19], v[82:83], v[30:31]
	v_add_f64 v[24:25], v[90:91], -v[4:5]
	v_add_f64 v[26:27], v[92:93], -v[6:7]
	v_add_u32_e32 v21, 0, v21
	v_fma_f64 v[16:17], v[82:83], v[28:29], -v[16:17]
	v_fmac_f64_e32 v[18:19], v[84:85], v[28:29]
	v_fma_f64 v[28:29], v[90:91], 2.0, -v[24:25]
	v_fma_f64 v[30:31], v[92:93], 2.0, -v[26:27]
	v_add3_u32 v21, v21, v117, v221
	ds_write_b128 v21, v[28:31]
	ds_write_b128 v21, v[24:27] offset:272
	v_mov_b32_e32 v21, 0
	v_add_f64 v[16:17], v[94:95], -v[16:17]
	v_add_f64 v[18:19], v[96:97], -v[18:19]
	v_add_u32_sdwa v20, v21, v20 dst_sel:DWORD dst_unused:UNUSED_PAD src0_sel:DWORD src1_sel:WORD_1
	v_fma_f64 v[4:5], v[94:95], 2.0, -v[16:17]
	v_fma_f64 v[6:7], v[96:97], 2.0, -v[18:19]
	v_add3_u32 v20, v20, v118, v221
	ds_write_b128 v20, v[4:7]
	ds_write_b128 v20, v[16:19] offset:272
	v_mad_u32_u24 v20, v113, s4, 0
	v_fma_f64 v[8:9], v[78:79], 2.0, -v[12:13]
	v_fma_f64 v[10:11], v[80:81], 2.0, -v[14:15]
	v_add3_u32 v20, v20, v114, v221
	ds_write_b128 v20, v[8:11]
	ds_write_b128 v20, v[12:15] offset:272
	s_waitcnt lgkmcnt(0)
	s_barrier
	ds_read_b128 v[24:27], v217
	ds_read_b128 v[20:23], v218 offset:1360
	ds_read_b128 v[44:47], v218 offset:3808
	;; [unrolled: 1-line block ×9, first 2 shown]
	s_movk_i32 s4, 0x44
	v_cmp_gt_u32_e32 vcc, s4, v124
	s_and_saveexec_b64 s[4:5], vcc
	s_cbranch_execz .LBB0_16
; %bb.15:
	ds_read_b128 v[4:7], v218 offset:2720
	ds_read_b128 v[16:19], v218 offset:6528
	;; [unrolled: 1-line block ×5, first 2 shown]
.LBB0_16:
	s_or_b64 exec, exec, s[4:5]
	v_lshrrev_b16_e32 v69, 13, v68
	v_mul_lo_u16_e32 v68, 34, v69
	v_sub_u16_e32 v116, v124, v68
	v_mov_b32_e32 v68, 6
	v_lshlrev_b32_sdwa v86, v68, v116 dst_sel:DWORD dst_unused:UNUSED_PAD src0_sel:DWORD src1_sel:BYTE_0
	v_lshrrev_b16_e32 v117, 13, v67
	global_load_dwordx4 v[70:73], v86, s[8:9] offset:272
	global_load_dwordx4 v[74:77], v86, s[8:9] offset:288
	;; [unrolled: 1-line block ×4, first 2 shown]
	v_mul_lo_u16_e32 v67, 34, v117
	v_sub_u16_e32 v118, v66, v67
	v_lshlrev_b32_sdwa v66, v68, v118 dst_sel:DWORD dst_unused:UNUSED_PAD src0_sel:DWORD src1_sel:BYTE_0
	global_load_dwordx4 v[86:89], v66, s[8:9] offset:272
	global_load_dwordx4 v[90:93], v66, s[8:9] offset:288
	global_load_dwordx4 v[94:97], v66, s[8:9] offset:304
	global_load_dwordx4 v[98:101], v66, s[8:9] offset:320
	s_mov_b32 s12, 0x134454ff
	s_mov_b32 s13, 0x3fee6f0e
	;; [unrolled: 1-line block ×10, first 2 shown]
	s_movk_i32 s20, 0xaa0
	s_waitcnt lgkmcnt(0)
	s_barrier
	s_waitcnt vmcnt(7)
	v_mul_f64 v[66:67], v[46:47], v[72:73]
	v_mul_f64 v[72:73], v[44:45], v[72:73]
	s_waitcnt vmcnt(6)
	v_mul_f64 v[102:103], v[50:51], v[76:77]
	s_waitcnt vmcnt(4)
	v_mul_f64 v[104:105], v[54:55], v[84:85]
	v_mul_f64 v[76:77], v[48:49], v[76:77]
	;; [unrolled: 1-line block ×5, first 2 shown]
	s_waitcnt vmcnt(3)
	v_mul_f64 v[108:109], v[30:31], v[88:89]
	v_mul_f64 v[88:89], v[28:29], v[88:89]
	v_fma_f64 v[44:45], v[44:45], v[70:71], -v[66:67]
	v_fmac_f64_e32 v[72:73], v[46:47], v[70:71]
	v_fma_f64 v[46:47], v[48:49], v[74:75], -v[102:103]
	v_fma_f64 v[48:49], v[52:53], v[82:83], -v[104:105]
	s_waitcnt vmcnt(2)
	v_mul_f64 v[110:111], v[34:35], v[92:93]
	v_mul_f64 v[92:93], v[32:33], v[92:93]
	s_waitcnt vmcnt(1)
	v_mul_f64 v[112:113], v[38:39], v[96:97]
	v_fmac_f64_e32 v[76:77], v[50:51], v[74:75]
	v_fmac_f64_e32 v[84:85], v[54:55], v[82:83]
	v_fma_f64 v[50:51], v[56:57], v[78:79], -v[106:107]
	v_fmac_f64_e32 v[80:81], v[58:59], v[78:79]
	v_fma_f64 v[54:55], v[28:29], v[86:87], -v[108:109]
	v_fmac_f64_e32 v[88:89], v[30:31], v[86:87]
	v_add_f64 v[28:29], v[24:25], v[44:45]
	v_add_f64 v[30:31], v[46:47], v[48:49]
	v_mul_f64 v[96:97], v[36:37], v[96:97]
	v_fma_f64 v[58:59], v[32:33], v[90:91], -v[110:111]
	v_fmac_f64_e32 v[92:93], v[34:35], v[90:91]
	v_fma_f64 v[66:67], v[36:37], v[94:95], -v[112:113]
	v_add_f64 v[34:35], v[72:73], -v[80:81]
	v_add_f64 v[32:33], v[44:45], -v[46:47]
	;; [unrolled: 1-line block ×3, first 2 shown]
	v_add_f64 v[74:75], v[28:29], v[46:47]
	v_fma_f64 v[28:29], -0.5, v[30:31], v[24:25]
	s_waitcnt vmcnt(0)
	v_mul_f64 v[114:115], v[42:43], v[100:101]
	v_fmac_f64_e32 v[96:97], v[38:39], v[94:95]
	v_add_f64 v[38:39], v[76:77], -v[84:85]
	v_add_f64 v[30:31], v[32:33], v[36:37]
	v_fma_f64 v[32:33], s[12:13], v[34:35], v[28:29]
	v_fmac_f64_e32 v[28:29], s[16:17], v[34:35]
	v_mul_f64 v[100:101], v[40:41], v[100:101]
	v_fma_f64 v[70:71], v[40:41], v[98:99], -v[114:115]
	v_add_f64 v[40:41], v[44:45], v[50:51]
	v_fmac_f64_e32 v[32:33], s[4:5], v[38:39]
	v_fmac_f64_e32 v[28:29], s[14:15], v[38:39]
	v_fmac_f64_e32 v[24:25], -0.5, v[40:41]
	v_fmac_f64_e32 v[32:33], s[10:11], v[30:31]
	v_fmac_f64_e32 v[28:29], s[10:11], v[30:31]
	v_add_f64 v[30:31], v[76:77], v[84:85]
	v_fmac_f64_e32 v[100:101], v[42:43], v[98:99]
	v_add_f64 v[42:43], v[46:47], -v[44:45]
	v_add_f64 v[52:53], v[48:49], -v[50:51]
	v_fma_f64 v[36:37], s[16:17], v[38:39], v[24:25]
	v_fmac_f64_e32 v[24:25], s[12:13], v[38:39]
	v_fma_f64 v[30:31], -0.5, v[30:31], v[26:27]
	v_add_f64 v[44:45], v[44:45], -v[50:51]
	v_add_f64 v[52:53], v[42:43], v[52:53]
	v_add_f64 v[42:43], v[74:75], v[48:49]
	v_fmac_f64_e32 v[36:37], s[4:5], v[34:35]
	v_fmac_f64_e32 v[24:25], s[14:15], v[34:35]
	v_fma_f64 v[34:35], s[16:17], v[44:45], v[30:31]
	v_add_f64 v[46:47], v[46:47], -v[48:49]
	v_add_f64 v[38:39], v[72:73], -v[76:77]
	;; [unrolled: 1-line block ×3, first 2 shown]
	v_fmac_f64_e32 v[30:31], s[12:13], v[44:45]
	v_fmac_f64_e32 v[34:35], s[14:15], v[46:47]
	v_add_f64 v[38:39], v[38:39], v[48:49]
	v_fmac_f64_e32 v[30:31], s[4:5], v[46:47]
	v_add_f64 v[56:57], v[26:27], v[72:73]
	v_fmac_f64_e32 v[34:35], s[10:11], v[38:39]
	v_fmac_f64_e32 v[30:31], s[10:11], v[38:39]
	v_add_f64 v[38:39], v[72:73], v[80:81]
	v_add_f64 v[40:41], v[56:57], v[76:77]
	v_fmac_f64_e32 v[26:27], -0.5, v[38:39]
	v_add_f64 v[56:57], v[40:41], v[84:85]
	v_add_f64 v[40:41], v[42:43], v[50:51]
	v_fma_f64 v[38:39], s[12:13], v[46:47], v[26:27]
	v_add_f64 v[48:49], v[76:77], -v[72:73]
	v_add_f64 v[50:51], v[84:85], -v[80:81]
	v_fmac_f64_e32 v[26:27], s[16:17], v[46:47]
	v_fmac_f64_e32 v[38:39], s[14:15], v[44:45]
	v_add_f64 v[48:49], v[48:49], v[50:51]
	v_fmac_f64_e32 v[26:27], s[4:5], v[44:45]
	v_add_f64 v[46:47], v[58:59], v[66:67]
	v_fmac_f64_e32 v[38:39], s[10:11], v[48:49]
	v_fmac_f64_e32 v[26:27], s[10:11], v[48:49]
	v_fma_f64 v[48:49], -0.5, v[46:47], v[20:21]
	v_add_f64 v[46:47], v[88:89], -v[100:101]
	v_add_f64 v[42:43], v[56:57], v[80:81]
	v_fmac_f64_e32 v[36:37], s[10:11], v[52:53]
	v_fmac_f64_e32 v[24:25], s[10:11], v[52:53]
	v_fma_f64 v[52:53], s[12:13], v[46:47], v[48:49]
	v_add_f64 v[50:51], v[92:93], -v[96:97]
	v_add_f64 v[56:57], v[54:55], -v[58:59]
	;; [unrolled: 1-line block ×3, first 2 shown]
	v_fmac_f64_e32 v[48:49], s[16:17], v[46:47]
	v_fmac_f64_e32 v[52:53], s[4:5], v[50:51]
	v_add_f64 v[56:57], v[56:57], v[72:73]
	v_fmac_f64_e32 v[48:49], s[14:15], v[50:51]
	v_add_f64 v[44:45], v[20:21], v[54:55]
	v_fmac_f64_e32 v[52:53], s[10:11], v[56:57]
	v_fmac_f64_e32 v[48:49], s[10:11], v[56:57]
	v_add_f64 v[56:57], v[54:55], v[70:71]
	v_add_f64 v[44:45], v[44:45], v[58:59]
	v_fmac_f64_e32 v[20:21], -0.5, v[56:57]
	v_add_f64 v[44:45], v[44:45], v[66:67]
	v_fma_f64 v[56:57], s[16:17], v[50:51], v[20:21]
	v_add_f64 v[72:73], v[58:59], -v[54:55]
	v_add_f64 v[74:75], v[66:67], -v[70:71]
	v_fmac_f64_e32 v[20:21], s[12:13], v[50:51]
	v_add_f64 v[50:51], v[92:93], v[96:97]
	v_add_f64 v[44:45], v[44:45], v[70:71]
	v_fmac_f64_e32 v[56:57], s[4:5], v[46:47]
	v_add_f64 v[72:73], v[72:73], v[74:75]
	v_fmac_f64_e32 v[20:21], s[14:15], v[46:47]
	v_fma_f64 v[50:51], -0.5, v[50:51], v[22:23]
	v_add_f64 v[70:71], v[54:55], -v[70:71]
	v_fmac_f64_e32 v[56:57], s[10:11], v[72:73]
	v_fmac_f64_e32 v[20:21], s[10:11], v[72:73]
	v_fma_f64 v[54:55], s[16:17], v[70:71], v[50:51]
	v_add_f64 v[66:67], v[58:59], -v[66:67]
	v_add_f64 v[58:59], v[88:89], -v[92:93]
	;; [unrolled: 1-line block ×3, first 2 shown]
	v_fmac_f64_e32 v[50:51], s[12:13], v[70:71]
	v_fmac_f64_e32 v[54:55], s[14:15], v[66:67]
	v_add_f64 v[58:59], v[58:59], v[72:73]
	v_fmac_f64_e32 v[50:51], s[4:5], v[66:67]
	v_fmac_f64_e32 v[54:55], s[10:11], v[58:59]
	v_fmac_f64_e32 v[50:51], s[10:11], v[58:59]
	v_add_f64 v[58:59], v[88:89], v[100:101]
	v_add_f64 v[46:47], v[22:23], v[88:89]
	v_fmac_f64_e32 v[22:23], -0.5, v[58:59]
	v_fma_f64 v[58:59], s[12:13], v[66:67], v[22:23]
	v_fmac_f64_e32 v[22:23], s[16:17], v[66:67]
	v_mad_u32_u24 v66, v69, s20, 0
	v_lshlrev_b32_sdwa v67, v65, v116 dst_sel:DWORD dst_unused:UNUSED_PAD src0_sel:DWORD src1_sel:BYTE_0
	v_add_f64 v[46:47], v[46:47], v[92:93]
	v_add3_u32 v66, v66, v67, v221
	v_add_f64 v[46:47], v[46:47], v[96:97]
	v_add_f64 v[72:73], v[92:93], -v[88:89]
	v_add_f64 v[74:75], v[96:97], -v[100:101]
	ds_write_b128 v66, v[40:43]
	ds_write_b128 v66, v[32:35] offset:544
	ds_write_b128 v66, v[36:39] offset:1088
	;; [unrolled: 1-line block ×4, first 2 shown]
	v_mad_u32_u24 v24, v117, s20, 0
	v_lshlrev_b32_sdwa v25, v65, v118 dst_sel:DWORD dst_unused:UNUSED_PAD src0_sel:DWORD src1_sel:BYTE_0
	v_add_f64 v[46:47], v[46:47], v[100:101]
	v_fmac_f64_e32 v[58:59], s[14:15], v[70:71]
	v_add_f64 v[72:73], v[72:73], v[74:75]
	v_fmac_f64_e32 v[22:23], s[4:5], v[70:71]
	v_add3_u32 v24, v24, v25, v221
	v_fmac_f64_e32 v[58:59], s[10:11], v[72:73]
	v_fmac_f64_e32 v[22:23], s[10:11], v[72:73]
	ds_write_b128 v24, v[44:47]
	ds_write_b128 v24, v[52:55] offset:544
	ds_write_b128 v24, v[56:59] offset:1088
	;; [unrolled: 1-line block ×4, first 2 shown]
	s_and_saveexec_b64 s[18:19], vcc
	s_cbranch_execz .LBB0_18
; %bb.17:
	s_movk_i32 s21, 0xf1
	v_mul_lo_u16_sdwa v20, v64, s21 dst_sel:DWORD dst_unused:UNUSED_PAD src0_sel:BYTE_0 src1_sel:DWORD
	v_lshrrev_b16_e32 v36, 13, v20
	v_mul_lo_u16_e32 v20, 34, v36
	v_sub_u16_e32 v37, v64, v20
	v_lshlrev_b32_sdwa v38, v68, v37 dst_sel:DWORD dst_unused:UNUSED_PAD src0_sel:DWORD src1_sel:BYTE_0
	global_load_dwordx4 v[20:23], v38, s[8:9] offset:288
	global_load_dwordx4 v[24:27], v38, s[8:9] offset:272
	;; [unrolled: 1-line block ×4, first 2 shown]
	v_mov_b32_e32 v38, 4
	v_mad_u32_u24 v36, v36, s20, 0
	v_lshlrev_b32_sdwa v37, v38, v37 dst_sel:DWORD dst_unused:UNUSED_PAD src0_sel:DWORD src1_sel:BYTE_0
	v_add3_u32 v56, v36, v37, v221
	s_waitcnt vmcnt(3)
	v_mul_f64 v[36:37], v[8:9], v[22:23]
	s_waitcnt vmcnt(2)
	v_mul_f64 v[38:39], v[16:17], v[26:27]
	;; [unrolled: 2-line block ×4, first 2 shown]
	v_mul_f64 v[26:27], v[18:19], v[26:27]
	v_mul_f64 v[34:35], v[2:3], v[34:35]
	;; [unrolled: 1-line block ×4, first 2 shown]
	v_fmac_f64_e32 v[36:37], v[10:11], v[20:21]
	v_fmac_f64_e32 v[38:39], v[18:19], v[24:25]
	;; [unrolled: 1-line block ×4, first 2 shown]
	v_fma_f64 v[2:3], v[16:17], v[24:25], -v[26:27]
	v_fma_f64 v[16:17], v[0:1], v[32:33], -v[34:35]
	;; [unrolled: 1-line block ×4, first 2 shown]
	v_add_f64 v[0:1], v[36:37], -v[38:39]
	v_add_f64 v[10:11], v[40:41], -v[42:43]
	v_add_f64 v[12:13], v[38:39], v[42:43]
	v_add_f64 v[26:27], v[36:37], v[40:41]
	;; [unrolled: 1-line block ×3, first 2 shown]
	v_add_f64 v[30:31], v[8:9], -v[2:3]
	v_add_f64 v[32:33], v[18:19], -v[16:17]
	v_add_f64 v[44:45], v[2:3], v[16:17]
	v_add_f64 v[50:51], v[8:9], v[18:19]
	;; [unrolled: 1-line block ×3, first 2 shown]
	v_add_f64 v[20:21], v[2:3], -v[16:17]
	v_add_f64 v[22:23], v[8:9], -v[18:19]
	;; [unrolled: 1-line block ×7, first 2 shown]
	v_add_f64 v[54:55], v[0:1], v[10:11]
	v_fma_f64 v[2:3], -0.5, v[12:13], v[6:7]
	v_fma_f64 v[6:7], -0.5, v[26:27], v[6:7]
	v_add_f64 v[12:13], v[28:29], v[36:37]
	v_add_f64 v[26:27], v[30:31], v[32:33]
	v_fma_f64 v[0:1], -0.5, v[44:45], v[4:5]
	v_fma_f64 v[4:5], -0.5, v[50:51], v[4:5]
	v_add_f64 v[30:31], v[52:53], v[8:9]
	v_add_f64 v[48:49], v[16:17], -v[18:19]
	v_add_f64 v[24:25], v[14:15], v[24:25]
	v_fma_f64 v[10:11], s[16:17], v[22:23], v[2:3]
	v_fmac_f64_e32 v[2:3], s[12:13], v[22:23]
	v_fma_f64 v[14:15], s[12:13], v[20:21], v[6:7]
	v_fmac_f64_e32 v[6:7], s[16:17], v[20:21]
	v_add_f64 v[32:33], v[12:13], v[40:41]
	v_fma_f64 v[8:9], s[12:13], v[34:35], v[0:1]
	v_fmac_f64_e32 v[0:1], s[16:17], v[34:35]
	v_fma_f64 v[12:13], s[16:17], v[38:39], v[4:5]
	v_fmac_f64_e32 v[4:5], s[12:13], v[38:39]
	v_add_f64 v[30:31], v[30:31], v[18:19]
	v_add_f64 v[28:29], v[46:47], v[48:49]
	v_fmac_f64_e32 v[10:11], s[4:5], v[20:21]
	v_fmac_f64_e32 v[2:3], s[14:15], v[20:21]
	v_fmac_f64_e32 v[14:15], s[4:5], v[22:23]
	v_fmac_f64_e32 v[6:7], s[14:15], v[22:23]
	v_add_f64 v[18:19], v[32:33], v[42:43]
	v_fmac_f64_e32 v[8:9], s[14:15], v[38:39]
	v_fmac_f64_e32 v[0:1], s[4:5], v[38:39]
	v_fmac_f64_e32 v[12:13], s[14:15], v[34:35]
	v_fmac_f64_e32 v[4:5], s[4:5], v[34:35]
	;; [unrolled: 5-line block ×3, first 2 shown]
	v_fmac_f64_e32 v[8:9], s[10:11], v[26:27]
	v_fmac_f64_e32 v[0:1], s[10:11], v[26:27]
	;; [unrolled: 1-line block ×4, first 2 shown]
	ds_write_b128 v56, v[16:19]
	ds_write_b128 v56, v[4:7] offset:544
	ds_write_b128 v56, v[0:3] offset:1088
	ds_write_b128 v56, v[8:11] offset:1632
	ds_write_b128 v56, v[12:15] offset:2176
.LBB0_18:
	s_or_b64 exec, exec, s[18:19]
	v_mul_u32_u24_e32 v0, 6, v124
	v_lshlrev_b32_e32 v8, 4, v0
	s_waitcnt lgkmcnt(0)
	s_barrier
	global_load_dwordx4 v[4:7], v8, s[8:9] offset:2448
	global_load_dwordx4 v[10:13], v8, s[8:9] offset:2464
	;; [unrolled: 1-line block ×6, first 2 shown]
	v_mov_b32_e32 v9, 0
	s_mov_b64 s[4:5], 0x1fe0
	v_lshl_add_u64 v[0:1], s[8:9], 0, v[8:9]
	v_lshl_add_u64 v[0:1], v[0:1], 0, s[4:5]
	global_load_dwordx4 v[30:33], v[0:1], off offset:2448
	global_load_dwordx4 v[34:37], v[0:1], off offset:2464
	;; [unrolled: 1-line block ×6, first 2 shown]
	ds_read_b128 v[54:57], v217
	ds_read_b128 v[0:3], v218 offset:1360
	ds_read_b128 v[64:67], v218 offset:2720
	;; [unrolled: 1-line block ×3, first 2 shown]
	ds_read_b128 v[72:75], v61
	ds_read_b128 v[76:79], v63
	ds_read_b128 v[80:83], v218 offset:8160
	ds_read_b128 v[84:87], v218 offset:9520
	;; [unrolled: 1-line block ×8, first 2 shown]
	s_mov_b32 s14, 0xe976ee23
	s_mov_b32 s10, 0x37e14327
	;; [unrolled: 1-line block ×20, first 2 shown]
	v_lshl_add_u32 v8, v219, 4, v220
	s_waitcnt lgkmcnt(0)
	s_barrier
	v_cmp_ne_u32_e32 vcc, 0, v124
	s_waitcnt vmcnt(11)
	v_mul_f64 v[58:59], v[66:67], v[6:7]
	v_mul_f64 v[6:7], v[64:65], v[6:7]
	s_waitcnt vmcnt(10)
	v_mul_f64 v[112:113], v[74:75], v[12:13]
	v_mul_f64 v[12:13], v[72:73], v[12:13]
	;; [unrolled: 3-line block ×6, first 2 shown]
	v_fma_f64 v[58:59], v[64:65], v[4:5], -v[58:59]
	v_fmac_f64_e32 v[6:7], v[66:67], v[4:5]
	v_fma_f64 v[4:5], v[72:73], v[10:11], -v[112:113]
	v_fmac_f64_e32 v[12:13], v[74:75], v[10:11]
	;; [unrolled: 2-line block ×6, first 2 shown]
	s_waitcnt vmcnt(5)
	v_mul_f64 v[26:27], v[70:71], v[32:33]
	v_mul_f64 v[64:65], v[68:69], v[32:33]
	v_add_f64 v[82:83], v[58:59], v[22:23]
	v_fma_f64 v[68:69], v[68:69], v[30:31], -v[26:27]
	v_add_f64 v[26:27], v[6:7], v[28:29]
	v_add_f64 v[6:7], v[6:7], -v[28:29]
	v_add_f64 v[28:29], v[4:5], v[18:19]
	v_fmac_f64_e32 v[64:65], v[70:71], v[30:31]
	v_add_f64 v[30:31], v[12:13], v[24:25]
	v_add_f64 v[4:5], v[4:5], -v[18:19]
	v_add_f64 v[12:13], v[12:13], -v[24:25]
	v_add_f64 v[18:19], v[10:11], v[14:15]
	v_add_f64 v[24:25], v[16:17], v[20:21]
	v_add_f64 v[10:11], v[14:15], -v[10:11]
	v_add_f64 v[14:15], v[20:21], -v[16:17]
	v_add_f64 v[16:17], v[28:29], v[82:83]
	s_waitcnt vmcnt(4)
	v_mul_f64 v[32:33], v[78:79], v[36:37]
	v_mul_f64 v[36:37], v[76:77], v[36:37]
	s_waitcnt vmcnt(3)
	v_mul_f64 v[66:67], v[86:87], v[40:41]
	v_mul_f64 v[40:41], v[84:85], v[40:41]
	;; [unrolled: 3-line block ×3, first 2 shown]
	s_waitcnt vmcnt(1)
	v_mul_f64 v[74:75], v[102:103], v[48:49]
	v_add_f64 v[22:23], v[58:59], -v[22:23]
	v_add_f64 v[20:21], v[30:31], v[26:27]
	v_add_f64 v[16:17], v[18:19], v[16:17]
	v_mul_f64 v[48:49], v[100:101], v[48:49]
	s_waitcnt vmcnt(0)
	v_mul_f64 v[80:81], v[110:111], v[52:53]
	v_mul_f64 v[52:53], v[108:109], v[52:53]
	v_fma_f64 v[70:71], v[76:77], v[34:35], -v[32:33]
	v_fmac_f64_e32 v[36:37], v[78:79], v[34:35]
	v_fma_f64 v[34:35], v[84:85], v[38:39], -v[66:67]
	v_fmac_f64_e32 v[40:41], v[86:87], v[38:39]
	;; [unrolled: 2-line block ×3, first 2 shown]
	v_fma_f64 v[42:43], v[100:101], v[46:47], -v[74:75]
	v_add_f64 v[32:33], v[28:29], -v[82:83]
	v_add_f64 v[58:59], v[82:83], -v[18:19]
	;; [unrolled: 1-line block ×3, first 2 shown]
	v_add_f64 v[66:67], v[10:11], v[4:5]
	v_add_f64 v[72:73], v[14:15], v[12:13]
	v_add_f64 v[74:75], v[10:11], -v[4:5]
	v_add_f64 v[76:77], v[14:15], -v[12:13]
	;; [unrolled: 1-line block ×3, first 2 shown]
	v_add_f64 v[18:19], v[24:25], v[20:21]
	v_add_f64 v[4:5], v[54:55], v[16:17]
	v_fmac_f64_e32 v[48:49], v[102:103], v[46:47]
	v_fma_f64 v[46:47], v[108:109], v[50:51], -v[80:81]
	v_fmac_f64_e32 v[52:53], v[110:111], v[50:51]
	v_add_f64 v[50:51], v[30:31], -v[26:27]
	v_add_f64 v[26:27], v[26:27], -v[24:25]
	;; [unrolled: 1-line block ×6, first 2 shown]
	v_add_f64 v[20:21], v[66:67], v[22:23]
	v_add_f64 v[22:23], v[72:73], v[6:7]
	;; [unrolled: 1-line block ×3, first 2 shown]
	v_mul_f64 v[66:67], v[76:77], s[14:15]
	v_mov_b64_e32 v[76:77], v[4:5]
	v_mul_f64 v[24:25], v[58:59], s[10:11]
	v_mul_f64 v[26:27], v[26:27], s[10:11]
	;; [unrolled: 1-line block ×5, first 2 shown]
	v_fmac_f64_e32 v[76:77], s[16:17], v[16:17]
	v_mov_b64_e32 v[16:17], v[6:7]
	v_mul_f64 v[58:59], v[74:75], s[14:15]
	v_mul_f64 v[74:75], v[12:13], s[12:13]
	v_fmac_f64_e32 v[16:17], s[16:17], v[18:19]
	v_fma_f64 v[18:19], v[32:33], s[18:19], -v[54:55]
	v_fma_f64 v[54:55], v[50:51], s[18:19], -v[56:57]
	;; [unrolled: 1-line block ×3, first 2 shown]
	v_fmac_f64_e32 v[24:25], s[4:5], v[28:29]
	v_fma_f64 v[28:29], v[50:51], s[20:21], -v[26:27]
	v_fma_f64 v[50:51], v[12:13], s[12:13], -v[66:67]
	;; [unrolled: 1-line block ×3, first 2 shown]
	v_fmac_f64_e32 v[26:27], s[4:5], v[30:31]
	v_fma_f64 v[30:31], v[78:79], s[12:13], -v[58:59]
	v_fmac_f64_e32 v[58:59], s[22:23], v[10:11]
	v_fmac_f64_e32 v[66:67], s[22:23], v[14:15]
	v_fma_f64 v[72:73], v[14:15], s[26:27], -v[74:75]
	v_add_f64 v[74:75], v[24:25], v[76:77]
	v_add_f64 v[24:25], v[18:19], v[76:77]
	;; [unrolled: 1-line block ×3, first 2 shown]
	v_fmac_f64_e32 v[50:51], s[24:25], v[22:23]
	v_fmac_f64_e32 v[56:57], s[24:25], v[20:21]
	v_add_f64 v[78:79], v[26:27], v[16:17]
	v_add_f64 v[26:27], v[54:55], v[16:17]
	;; [unrolled: 1-line block ×3, first 2 shown]
	v_fmac_f64_e32 v[58:59], s[24:25], v[20:21]
	v_fmac_f64_e32 v[66:67], s[24:25], v[22:23]
	;; [unrolled: 1-line block ×4, first 2 shown]
	v_add_f64 v[16:17], v[28:29], -v[56:57]
	v_add_f64 v[18:19], v[24:25], -v[50:51]
	v_add_f64 v[22:23], v[50:51], v[24:25]
	v_add_f64 v[28:29], v[56:57], v[28:29]
	;; [unrolled: 1-line block ×4, first 2 shown]
	v_add_f64 v[12:13], v[78:79], -v[58:59]
	v_add_f64 v[14:15], v[72:73], v[32:33]
	v_add_f64 v[20:21], v[30:31], v[26:27]
	v_add_f64 v[24:25], v[26:27], -v[30:31]
	v_add_f64 v[26:27], v[32:33], -v[72:73]
	v_add_f64 v[32:33], v[58:59], v[78:79]
	v_add_f64 v[54:55], v[64:65], v[52:53]
	v_add_f64 v[52:53], v[64:65], -v[52:53]
	v_add_f64 v[58:59], v[36:37], v[48:49]
	v_add_f64 v[36:37], v[36:37], -v[48:49]
	v_add_f64 v[48:49], v[34:35], v[38:39]
	v_add_f64 v[64:65], v[40:41], v[44:45]
	v_add_f64 v[34:35], v[38:39], -v[34:35]
	v_add_f64 v[38:39], v[44:45], -v[40:41]
	v_add_f64 v[40:41], v[56:57], v[50:51]
	v_add_f64 v[44:45], v[58:59], v[54:55]
	;; [unrolled: 1-line block ×3, first 2 shown]
	v_add_f64 v[46:47], v[68:69], -v[46:47]
	v_add_f64 v[42:43], v[70:71], -v[42:43]
	v_add_f64 v[44:45], v[64:65], v[44:45]
	v_add_f64 v[0:1], v[0:1], v[40:41]
	v_add_f64 v[10:11], v[66:67], v[74:75]
	v_add_f64 v[30:31], v[74:75], -v[66:67]
	v_add_f64 v[66:67], v[56:57], -v[50:51]
	;; [unrolled: 1-line block ×7, first 2 shown]
	v_add_f64 v[70:71], v[34:35], v[42:43]
	v_add_f64 v[72:73], v[38:39], v[36:37]
	v_add_f64 v[74:75], v[34:35], -v[42:43]
	v_add_f64 v[76:77], v[38:39], -v[36:37]
	;; [unrolled: 1-line block ×4, first 2 shown]
	v_add_f64 v[2:3], v[2:3], v[44:45]
	v_mov_b64_e32 v[78:79], v[0:1]
	v_add_f64 v[34:35], v[46:47], -v[34:35]
	v_add_f64 v[38:39], v[52:53], -v[38:39]
	v_add_f64 v[46:47], v[70:71], v[46:47]
	v_add_f64 v[48:49], v[72:73], v[52:53]
	v_mul_f64 v[50:51], v[50:51], s[10:11]
	v_mul_f64 v[52:53], v[54:55], s[10:11]
	;; [unrolled: 1-line block ×8, first 2 shown]
	v_fmac_f64_e32 v[78:79], s[16:17], v[40:41]
	v_mov_b64_e32 v[40:41], v[2:3]
	v_fmac_f64_e32 v[40:41], s[16:17], v[44:45]
	v_fma_f64 v[44:45], s[4:5], v[56:57], v[50:51]
	v_fma_f64 v[54:55], v[66:67], s[18:19], -v[54:55]
	v_fma_f64 v[56:57], v[68:69], s[18:19], -v[64:65]
	v_fma_f64 v[50:51], v[66:67], s[20:21], -v[50:51]
	v_fma_f64 v[64:65], v[68:69], s[20:21], -v[52:53]
	v_fmac_f64_e32 v[52:53], s[4:5], v[58:59]
	v_fma_f64 v[58:59], s[22:23], v[34:35], v[70:71]
	v_fma_f64 v[66:67], v[42:43], s[12:13], -v[70:71]
	v_fma_f64 v[68:69], v[36:37], s[12:13], -v[72:73]
	v_fmac_f64_e32 v[72:73], s[22:23], v[38:39]
	v_fma_f64 v[70:71], v[34:35], s[26:27], -v[74:75]
	v_fma_f64 v[74:75], v[38:39], s[26:27], -v[76:77]
	v_add_f64 v[76:77], v[44:45], v[78:79]
	v_add_f64 v[80:81], v[52:53], v[40:41]
	v_add_f64 v[52:53], v[54:55], v[78:79]
	v_add_f64 v[54:55], v[56:57], v[40:41]
	v_add_f64 v[50:51], v[50:51], v[78:79]
	v_add_f64 v[56:57], v[64:65], v[40:41]
	v_fmac_f64_e32 v[58:59], s[24:25], v[46:47]
	v_fmac_f64_e32 v[72:73], s[24:25], v[48:49]
	;; [unrolled: 1-line block ×6, first 2 shown]
	v_add_f64 v[34:35], v[72:73], v[76:77]
	v_add_f64 v[36:37], v[80:81], -v[58:59]
	v_add_f64 v[38:39], v[74:75], v[50:51]
	v_add_f64 v[40:41], v[56:57], -v[70:71]
	v_add_f64 v[42:43], v[52:53], -v[68:69]
	v_add_f64 v[44:45], v[66:67], v[54:55]
	v_add_f64 v[46:47], v[68:69], v[52:53]
	v_add_f64 v[48:49], v[54:55], -v[66:67]
	v_add_f64 v[50:51], v[50:51], -v[74:75]
	v_add_f64 v[52:53], v[70:71], v[56:57]
	v_add_f64 v[54:55], v[76:77], -v[72:73]
	v_add_f64 v[56:57], v[58:59], v[80:81]
	ds_write_b128 v218, v[4:7]
	ds_write_b128 v218, v[10:13] offset:2720
	ds_write_b128 v218, v[14:17] offset:5440
	;; [unrolled: 1-line block ×13, first 2 shown]
	s_waitcnt lgkmcnt(0)
	s_barrier
	ds_read_b128 v[0:3], v217
	s_add_u32 s4, s8, 0x4950
	s_addc_u32 s5, s9, 0
	v_sub_u32_e32 v16, v216, v125
                                        ; implicit-def: $vgpr4_vgpr5
                                        ; implicit-def: $vgpr10_vgpr11
                                        ; implicit-def: $vgpr12_vgpr13
                                        ; implicit-def: $vgpr14_vgpr15
	s_and_saveexec_b64 s[8:9], vcc
	s_xor_b64 s[8:9], exec, s[8:9]
	s_cbranch_execz .LBB0_20
; %bb.19:
	v_mov_b32_e32 v125, v9
	v_lshl_add_u64 v[4:5], v[124:125], 4, s[4:5]
	global_load_dwordx4 v[4:7], v[4:5], off
	ds_read_b128 v[8:11], v16 offset:19040
	s_waitcnt lgkmcnt(0)
	v_add_f64 v[14:15], v[0:1], v[8:9]
	v_add_f64 v[0:1], v[0:1], -v[8:9]
	v_add_f64 v[12:13], v[2:3], v[10:11]
	v_add_f64 v[2:3], v[2:3], -v[10:11]
	v_mul_f64 v[0:1], v[0:1], 0.5
	v_mul_f64 v[8:9], v[12:13], 0.5
	;; [unrolled: 1-line block ×3, first 2 shown]
	s_waitcnt vmcnt(0)
	v_mul_f64 v[18:19], v[0:1], v[6:7]
	v_fma_f64 v[12:13], v[8:9], v[6:7], v[2:3]
	v_fma_f64 v[2:3], v[8:9], v[6:7], -v[2:3]
	v_fma_f64 v[10:11], 0.5, v[14:15], v[18:19]
	v_fma_f64 v[14:15], v[14:15], 0.5, -v[18:19]
	v_fma_f64 v[12:13], -v[4:5], v[0:1], v[12:13]
	v_fma_f64 v[6:7], -v[4:5], v[0:1], v[2:3]
	v_fmac_f64_e32 v[10:11], v[8:9], v[4:5]
	v_fma_f64 v[4:5], -v[8:9], v[4:5], v[14:15]
	v_mov_b64_e32 v[14:15], v[124:125]
                                        ; implicit-def: $vgpr0_vgpr1
.LBB0_20:
	s_andn2_saveexec_b64 s[8:9], s[8:9]
	s_cbranch_execz .LBB0_22
; %bb.21:
	ds_read_b64 v[6:7], v216 offset:9528
	v_mov_b64_e32 v[12:13], 0
	s_waitcnt lgkmcnt(1)
	v_add_f64 v[10:11], v[0:1], v[2:3]
	v_add_f64 v[4:5], v[0:1], -v[2:3]
	v_mov_b64_e32 v[14:15], 0
	s_waitcnt lgkmcnt(0)
	v_xor_b32_e32 v7, 0x80000000, v7
	ds_write_b64 v216, v[6:7] offset:9528
	v_mov_b64_e32 v[6:7], v[12:13]
.LBB0_22:
	s_or_b64 exec, exec, s[8:9]
	v_lshl_add_u64 v[8:9], v[14:15], 4, s[4:5]
	global_load_dwordx4 v[18:21], v[8:9], off offset:1360
	s_waitcnt lgkmcnt(0)
	global_load_dwordx4 v[0:3], v[8:9], off offset:2720
	global_load_dwordx4 v[22:25], v[8:9], off offset:4080
	v_mov_b32_e32 v61, 0
	ds_write2_b64 v217, v[10:11], v[12:13] offset1:1
	ds_write_b128 v16, v[4:7] offset:19040
	v_lshl_add_u64 v[14:15], v[60:61], 4, s[4:5]
	ds_read_b128 v[4:7], v217 offset:1360
	ds_read_b128 v[10:13], v16 offset:17680
	global_load_dwordx4 v[26:29], v[14:15], off
	v_mov_b32_e32 v63, v61
	s_movk_i32 s8, 0x1000
	v_add_u32_e32 v17, 0x800, v217
	s_waitcnt lgkmcnt(0)
	v_add_f64 v[14:15], v[4:5], v[10:11]
	v_add_f64 v[4:5], v[4:5], -v[10:11]
	v_add_f64 v[30:31], v[6:7], v[12:13]
	v_add_f64 v[6:7], v[6:7], -v[12:13]
	v_mul_f64 v[4:5], v[4:5], 0.5
	v_mul_f64 v[10:11], v[30:31], 0.5
	;; [unrolled: 1-line block ×3, first 2 shown]
	v_add_co_u32_e32 v8, vcc, s8, v8
	v_lshl_add_u32 v32, v60, 4, v216
	s_nop 0
	v_addc_co_u32_e32 v9, vcc, 0, v9, vcc
	s_waitcnt vmcnt(3)
	v_mul_f64 v[12:13], v[4:5], v[20:21]
	v_fma_f64 v[30:31], v[10:11], v[20:21], v[6:7]
	v_fma_f64 v[6:7], v[10:11], v[20:21], -v[6:7]
	v_fma_f64 v[20:21], 0.5, v[14:15], v[12:13]
	v_fma_f64 v[30:31], -v[18:19], v[4:5], v[30:31]
	v_fma_f64 v[12:13], v[14:15], 0.5, -v[12:13]
	v_fmac_f64_e32 v[20:21], v[10:11], v[18:19]
	v_fma_f64 v[6:7], -v[18:19], v[4:5], v[6:7]
	v_fma_f64 v[4:5], -v[10:11], v[18:19], v[12:13]
	ds_write2_b64 v217, v[20:21], v[30:31] offset0:170 offset1:171
	ds_write_b128 v16, v[4:7] offset:17680
	v_lshl_add_u64 v[14:15], v[62:63], 4, s[4:5]
	ds_read_b128 v[4:7], v217 offset:2720
	ds_read_b128 v[10:13], v16 offset:16320
	global_load_dwordx4 v[18:21], v[14:15], off
	s_waitcnt lgkmcnt(0)
	v_add_f64 v[14:15], v[4:5], v[10:11]
	v_add_f64 v[4:5], v[4:5], -v[10:11]
	v_add_f64 v[30:31], v[6:7], v[12:13]
	v_add_f64 v[6:7], v[6:7], -v[12:13]
	v_mul_f64 v[4:5], v[4:5], 0.5
	v_mul_f64 v[10:11], v[30:31], 0.5
	;; [unrolled: 1-line block ×3, first 2 shown]
	s_waitcnt vmcnt(3)
	v_mul_f64 v[12:13], v[4:5], v[2:3]
	v_fma_f64 v[30:31], v[10:11], v[2:3], v[6:7]
	v_fma_f64 v[2:3], v[10:11], v[2:3], -v[6:7]
	v_fma_f64 v[6:7], 0.5, v[14:15], v[12:13]
	v_fma_f64 v[30:31], -v[0:1], v[4:5], v[30:31]
	v_fma_f64 v[12:13], v[14:15], 0.5, -v[12:13]
	v_fmac_f64_e32 v[6:7], v[10:11], v[0:1]
	v_fma_f64 v[2:3], -v[0:1], v[4:5], v[2:3]
	v_fma_f64 v[0:1], -v[10:11], v[0:1], v[12:13]
	ds_write2_b64 v17, v[6:7], v[30:31] offset0:84 offset1:85
	ds_write_b128 v16, v[0:3] offset:16320
	ds_read_b128 v[0:3], v217 offset:4080
	ds_read_b128 v[4:7], v16 offset:14960
	global_load_dwordx4 v[8:11], v[8:9], off offset:4064
	s_waitcnt lgkmcnt(0)
	v_add_f64 v[12:13], v[0:1], v[4:5]
	v_add_f64 v[0:1], v[0:1], -v[4:5]
	v_add_f64 v[14:15], v[2:3], v[6:7]
	v_add_f64 v[2:3], v[2:3], -v[6:7]
	v_mul_f64 v[0:1], v[0:1], 0.5
	v_mul_f64 v[4:5], v[14:15], 0.5
	;; [unrolled: 1-line block ×3, first 2 shown]
	s_waitcnt vmcnt(3)
	v_mul_f64 v[6:7], v[0:1], v[24:25]
	v_fma_f64 v[14:15], v[4:5], v[24:25], v[2:3]
	v_fma_f64 v[2:3], v[4:5], v[24:25], -v[2:3]
	v_fma_f64 v[24:25], 0.5, v[12:13], v[6:7]
	v_fma_f64 v[14:15], -v[22:23], v[0:1], v[14:15]
	v_fma_f64 v[6:7], v[12:13], 0.5, -v[6:7]
	v_fmac_f64_e32 v[24:25], v[4:5], v[22:23]
	v_fma_f64 v[2:3], -v[22:23], v[0:1], v[2:3]
	v_fma_f64 v[0:1], -v[4:5], v[22:23], v[6:7]
	ds_write2_b64 v17, v[24:25], v[14:15] offset0:254 offset1:255
	ds_write_b128 v16, v[0:3] offset:14960
	ds_read_b128 v[0:3], v32
	ds_read_b128 v[4:7], v16 offset:13600
	v_lshl_add_u32 v17, v62, 4, v216
	s_waitcnt lgkmcnt(0)
	v_add_f64 v[12:13], v[0:1], v[4:5]
	v_add_f64 v[0:1], v[0:1], -v[4:5]
	v_add_f64 v[14:15], v[2:3], v[6:7]
	v_add_f64 v[2:3], v[2:3], -v[6:7]
	v_mul_f64 v[0:1], v[0:1], 0.5
	v_mul_f64 v[4:5], v[14:15], 0.5
	;; [unrolled: 1-line block ×3, first 2 shown]
	s_waitcnt vmcnt(2)
	v_mul_f64 v[6:7], v[0:1], v[28:29]
	v_fma_f64 v[14:15], v[4:5], v[28:29], v[2:3]
	v_fma_f64 v[22:23], 0.5, v[12:13], v[6:7]
	v_fma_f64 v[2:3], v[4:5], v[28:29], -v[2:3]
	v_fma_f64 v[14:15], -v[26:27], v[0:1], v[14:15]
	v_fma_f64 v[6:7], v[12:13], 0.5, -v[6:7]
	v_fmac_f64_e32 v[22:23], v[4:5], v[26:27]
	v_fma_f64 v[2:3], -v[26:27], v[0:1], v[2:3]
	v_fma_f64 v[0:1], -v[4:5], v[26:27], v[6:7]
	ds_write2_b64 v32, v[22:23], v[14:15] offset1:1
	ds_write_b128 v16, v[0:3] offset:13600
	ds_read_b128 v[0:3], v17
	ds_read_b128 v[4:7], v16 offset:12240
	s_waitcnt lgkmcnt(0)
	v_add_f64 v[12:13], v[0:1], v[4:5]
	v_add_f64 v[0:1], v[0:1], -v[4:5]
	v_add_f64 v[14:15], v[2:3], v[6:7]
	v_add_f64 v[2:3], v[2:3], -v[6:7]
	v_mul_f64 v[0:1], v[0:1], 0.5
	v_mul_f64 v[4:5], v[14:15], 0.5
	;; [unrolled: 1-line block ×3, first 2 shown]
	s_waitcnt vmcnt(1)
	v_mul_f64 v[6:7], v[0:1], v[20:21]
	v_fma_f64 v[14:15], v[4:5], v[20:21], v[2:3]
	v_fma_f64 v[2:3], v[4:5], v[20:21], -v[2:3]
	v_fma_f64 v[20:21], 0.5, v[12:13], v[6:7]
	v_fma_f64 v[14:15], -v[18:19], v[0:1], v[14:15]
	v_fma_f64 v[6:7], v[12:13], 0.5, -v[6:7]
	v_fmac_f64_e32 v[20:21], v[4:5], v[18:19]
	v_fma_f64 v[2:3], -v[18:19], v[0:1], v[2:3]
	v_fma_f64 v[0:1], -v[4:5], v[18:19], v[6:7]
	ds_write2_b64 v17, v[20:21], v[14:15] offset1:1
	ds_write_b128 v16, v[0:3] offset:12240
	ds_read_b128 v[0:3], v217 offset:8160
	ds_read_b128 v[4:7], v16 offset:10880
	s_waitcnt lgkmcnt(0)
	v_add_f64 v[12:13], v[0:1], v[4:5]
	v_add_f64 v[0:1], v[0:1], -v[4:5]
	v_add_f64 v[14:15], v[2:3], v[6:7]
	v_add_f64 v[2:3], v[2:3], -v[6:7]
	v_mul_f64 v[0:1], v[0:1], 0.5
	v_mul_f64 v[4:5], v[14:15], 0.5
	;; [unrolled: 1-line block ×3, first 2 shown]
	s_waitcnt vmcnt(0)
	v_mul_f64 v[6:7], v[0:1], v[10:11]
	v_fma_f64 v[14:15], v[4:5], v[10:11], v[2:3]
	v_fma_f64 v[2:3], v[4:5], v[10:11], -v[2:3]
	v_fma_f64 v[10:11], 0.5, v[12:13], v[6:7]
	v_fma_f64 v[6:7], v[12:13], 0.5, -v[6:7]
	v_fma_f64 v[14:15], -v[8:9], v[0:1], v[14:15]
	v_fma_f64 v[2:3], -v[8:9], v[0:1], v[2:3]
	v_fmac_f64_e32 v[10:11], v[4:5], v[8:9]
	v_fma_f64 v[0:1], -v[4:5], v[8:9], v[6:7]
	v_add_u32_e32 v4, 0x1800, v217
	ds_write2_b64 v4, v[10:11], v[14:15] offset0:252 offset1:253
	ds_write_b128 v16, v[0:3] offset:10880
	s_waitcnt lgkmcnt(0)
	s_barrier
	s_and_saveexec_b64 s[4:5], s[0:1]
	s_cbranch_execz .LBB0_25
; %bb.23:
	v_mul_lo_u32 v2, s3, v122
	v_mul_lo_u32 v3, s2, v123
	v_mad_u64_u32 v[0:1], s[0:1], s2, v122, 0
	v_add3_u32 v1, v1, v3, v2
	v_lshl_add_u32 v2, v124, 4, v216
	ds_read_b128 v[4:7], v2
	ds_read_b128 v[8:11], v2 offset:1360
	v_lshl_add_u64 v[0:1], v[0:1], 4, s[6:7]
	v_mov_b32_e32 v125, v61
	v_lshl_add_u64 v[0:1], v[120:121], 4, v[0:1]
	v_lshl_add_u64 v[12:13], v[124:125], 4, v[0:1]
	v_add_u32_e32 v60, 0x55, v124
	s_waitcnt lgkmcnt(1)
	global_store_dwordx4 v[12:13], v[4:7], off
	v_lshl_add_u64 v[12:13], v[60:61], 4, v[0:1]
	ds_read_b128 v[4:7], v2 offset:2720
	s_waitcnt lgkmcnt(1)
	global_store_dwordx4 v[12:13], v[8:11], off
	ds_read_b128 v[8:11], v2 offset:4080
	v_add_u32_e32 v60, 0xaa, v124
	v_lshl_add_u64 v[12:13], v[60:61], 4, v[0:1]
	v_add_u32_e32 v60, 0xff, v124
	s_waitcnt lgkmcnt(1)
	global_store_dwordx4 v[12:13], v[4:7], off
	v_lshl_add_u64 v[12:13], v[60:61], 4, v[0:1]
	ds_read_b128 v[4:7], v2 offset:5440
	s_waitcnt lgkmcnt(1)
	global_store_dwordx4 v[12:13], v[8:11], off
	ds_read_b128 v[8:11], v2 offset:6800
	v_add_u32_e32 v60, 0x154, v124
	;; [unrolled: 10-line block ×6, first 2 shown]
	v_lshl_add_u64 v[12:13], v[60:61], 4, v[0:1]
	v_add_u32_e32 v60, 0x451, v124
	s_movk_i32 s0, 0x54
	s_waitcnt lgkmcnt(1)
	global_store_dwordx4 v[12:13], v[4:7], off
	v_cmp_eq_u32_e32 vcc, s0, v124
	s_nop 0
	v_lshl_add_u64 v[4:5], v[60:61], 4, v[0:1]
	s_waitcnt lgkmcnt(0)
	global_store_dwordx4 v[4:5], v[8:11], off
	s_and_b64 exec, exec, vcc
	s_cbranch_execz .LBB0_25
; %bb.24:
	ds_read_b128 v[2:5], v2 offset:17696
	v_add_co_u32_e32 v0, vcc, 0x4000, v0
	s_nop 1
	v_addc_co_u32_e32 v1, vcc, 0, v1, vcc
	s_waitcnt lgkmcnt(0)
	global_store_dwordx4 v[0:1], v[2:5], off offset:2656
.LBB0_25:
	s_endpgm
	.section	.rodata,"a",@progbits
	.p2align	6, 0x0
	.amdhsa_kernel fft_rtc_fwd_len1190_factors_17_2_5_7_wgs_255_tpt_85_halfLds_dp_op_CI_CI_unitstride_sbrr_R2C_dirReg
		.amdhsa_group_segment_fixed_size 0
		.amdhsa_private_segment_fixed_size 0
		.amdhsa_kernarg_size 104
		.amdhsa_user_sgpr_count 2
		.amdhsa_user_sgpr_dispatch_ptr 0
		.amdhsa_user_sgpr_queue_ptr 0
		.amdhsa_user_sgpr_kernarg_segment_ptr 1
		.amdhsa_user_sgpr_dispatch_id 0
		.amdhsa_user_sgpr_kernarg_preload_length 0
		.amdhsa_user_sgpr_kernarg_preload_offset 0
		.amdhsa_user_sgpr_private_segment_size 0
		.amdhsa_uses_dynamic_stack 0
		.amdhsa_enable_private_segment 0
		.amdhsa_system_sgpr_workgroup_id_x 1
		.amdhsa_system_sgpr_workgroup_id_y 0
		.amdhsa_system_sgpr_workgroup_id_z 0
		.amdhsa_system_sgpr_workgroup_info 0
		.amdhsa_system_vgpr_workitem_id 0
		.amdhsa_next_free_vgpr 254
		.amdhsa_next_free_sgpr 60
		.amdhsa_accum_offset 256
		.amdhsa_reserve_vcc 1
		.amdhsa_float_round_mode_32 0
		.amdhsa_float_round_mode_16_64 0
		.amdhsa_float_denorm_mode_32 3
		.amdhsa_float_denorm_mode_16_64 3
		.amdhsa_dx10_clamp 1
		.amdhsa_ieee_mode 1
		.amdhsa_fp16_overflow 0
		.amdhsa_tg_split 0
		.amdhsa_exception_fp_ieee_invalid_op 0
		.amdhsa_exception_fp_denorm_src 0
		.amdhsa_exception_fp_ieee_div_zero 0
		.amdhsa_exception_fp_ieee_overflow 0
		.amdhsa_exception_fp_ieee_underflow 0
		.amdhsa_exception_fp_ieee_inexact 0
		.amdhsa_exception_int_div_zero 0
	.end_amdhsa_kernel
	.text
.Lfunc_end0:
	.size	fft_rtc_fwd_len1190_factors_17_2_5_7_wgs_255_tpt_85_halfLds_dp_op_CI_CI_unitstride_sbrr_R2C_dirReg, .Lfunc_end0-fft_rtc_fwd_len1190_factors_17_2_5_7_wgs_255_tpt_85_halfLds_dp_op_CI_CI_unitstride_sbrr_R2C_dirReg
                                        ; -- End function
	.section	.AMDGPU.csdata,"",@progbits
; Kernel info:
; codeLenInByte = 15424
; NumSgprs: 66
; NumVgprs: 254
; NumAgprs: 0
; TotalNumVgprs: 254
; ScratchSize: 0
; MemoryBound: 0
; FloatMode: 240
; IeeeMode: 1
; LDSByteSize: 0 bytes/workgroup (compile time only)
; SGPRBlocks: 8
; VGPRBlocks: 31
; NumSGPRsForWavesPerEU: 66
; NumVGPRsForWavesPerEU: 254
; AccumOffset: 256
; Occupancy: 2
; WaveLimiterHint : 1
; COMPUTE_PGM_RSRC2:SCRATCH_EN: 0
; COMPUTE_PGM_RSRC2:USER_SGPR: 2
; COMPUTE_PGM_RSRC2:TRAP_HANDLER: 0
; COMPUTE_PGM_RSRC2:TGID_X_EN: 1
; COMPUTE_PGM_RSRC2:TGID_Y_EN: 0
; COMPUTE_PGM_RSRC2:TGID_Z_EN: 0
; COMPUTE_PGM_RSRC2:TIDIG_COMP_CNT: 0
; COMPUTE_PGM_RSRC3_GFX90A:ACCUM_OFFSET: 63
; COMPUTE_PGM_RSRC3_GFX90A:TG_SPLIT: 0
	.text
	.p2alignl 6, 3212836864
	.fill 256, 4, 3212836864
	.type	__hip_cuid_944c10b12b8f580f,@object ; @__hip_cuid_944c10b12b8f580f
	.section	.bss,"aw",@nobits
	.globl	__hip_cuid_944c10b12b8f580f
__hip_cuid_944c10b12b8f580f:
	.byte	0                               ; 0x0
	.size	__hip_cuid_944c10b12b8f580f, 1

	.ident	"AMD clang version 19.0.0git (https://github.com/RadeonOpenCompute/llvm-project roc-6.4.0 25133 c7fe45cf4b819c5991fe208aaa96edf142730f1d)"
	.section	".note.GNU-stack","",@progbits
	.addrsig
	.addrsig_sym __hip_cuid_944c10b12b8f580f
	.amdgpu_metadata
---
amdhsa.kernels:
  - .agpr_count:     0
    .args:
      - .actual_access:  read_only
        .address_space:  global
        .offset:         0
        .size:           8
        .value_kind:     global_buffer
      - .offset:         8
        .size:           8
        .value_kind:     by_value
      - .actual_access:  read_only
        .address_space:  global
        .offset:         16
        .size:           8
        .value_kind:     global_buffer
      - .actual_access:  read_only
        .address_space:  global
        .offset:         24
        .size:           8
        .value_kind:     global_buffer
      - .actual_access:  read_only
        .address_space:  global
        .offset:         32
        .size:           8
        .value_kind:     global_buffer
      - .offset:         40
        .size:           8
        .value_kind:     by_value
      - .actual_access:  read_only
        .address_space:  global
        .offset:         48
        .size:           8
        .value_kind:     global_buffer
      - .actual_access:  read_only
        .address_space:  global
        .offset:         56
        .size:           8
        .value_kind:     global_buffer
      - .offset:         64
        .size:           4
        .value_kind:     by_value
      - .actual_access:  read_only
        .address_space:  global
        .offset:         72
        .size:           8
        .value_kind:     global_buffer
      - .actual_access:  read_only
        .address_space:  global
        .offset:         80
        .size:           8
        .value_kind:     global_buffer
      - .actual_access:  read_only
        .address_space:  global
        .offset:         88
        .size:           8
        .value_kind:     global_buffer
      - .actual_access:  write_only
        .address_space:  global
        .offset:         96
        .size:           8
        .value_kind:     global_buffer
    .group_segment_fixed_size: 0
    .kernarg_segment_align: 8
    .kernarg_segment_size: 104
    .language:       OpenCL C
    .language_version:
      - 2
      - 0
    .max_flat_workgroup_size: 255
    .name:           fft_rtc_fwd_len1190_factors_17_2_5_7_wgs_255_tpt_85_halfLds_dp_op_CI_CI_unitstride_sbrr_R2C_dirReg
    .private_segment_fixed_size: 0
    .sgpr_count:     66
    .sgpr_spill_count: 0
    .symbol:         fft_rtc_fwd_len1190_factors_17_2_5_7_wgs_255_tpt_85_halfLds_dp_op_CI_CI_unitstride_sbrr_R2C_dirReg.kd
    .uniform_work_group_size: 1
    .uses_dynamic_stack: false
    .vgpr_count:     254
    .vgpr_spill_count: 0
    .wavefront_size: 64
amdhsa.target:   amdgcn-amd-amdhsa--gfx950
amdhsa.version:
  - 1
  - 2
...

	.end_amdgpu_metadata
